;; amdgpu-corpus repo=ROCm/aiter kind=harvested arch=n/a opt=n/a

/root/src/amdgpu-assembly/repos/ROCm__aiter/hsa/gfx942/fmoe/gelu/fmoe_bf16_pertokenInt8_g1u1_vs_multix_gelu_1tg_32x448.co:	file format elf64-amdgpu

Disassembly of section .text:

0000000000002e00 <_ZN5aiter53fmoe_bf16_pertokenInt8_g1u1_vs_multix_gelu_1tg_32x448E>:
	s_and_b32 s1, s1, 0xffff                                   // 000000002E00: 8601FF01 0000FFFF
	s_load_dwordx2 s[8:9], s[0:1], 0x0                         // 000000002E08: C0060200 00000000
	s_load_dwordx2 s[20:21], s[0:1], 0x10                      // 000000002E10: C0060500 00000010
	s_load_dwordx2 s[24:25], s[0:1], 0x20                      // 000000002E18: C0060600 00000020
	s_load_dwordx2 s[50:51], s[0:1], 0x30                      // 000000002E20: C0060C80 00000030
	s_load_dwordx2 s[12:13], s[0:1], 0x40                      // 000000002E28: C0060300 00000040
	s_load_dwordx2 s[28:29], s[0:1], 0x50                      // 000000002E30: C0060700 00000050
	s_load_dwordx2 s[32:33], s[0:1], 0x60                      // 000000002E38: C0060800 00000060
	s_load_dwordx2 s[16:17], s[0:1], 0x70                      // 000000002E40: C0060400 00000070
	s_load_dwordx2 s[36:37], s[0:1], 0x80                      // 000000002E48: C0060900 00000080
	s_load_dwordx2 s[44:45], s[0:1], 0x90                      // 000000002E50: C0060B00 00000090
	s_load_dwordx2 s[40:41], s[0:1], 0xa0                      // 000000002E58: C0060A00 000000A0
	s_load_dwordx2 s[46:47], s[0:1], 0xb0                      // 000000002E60: C0060B80 000000B0
	s_load_dword s64, s[0:1], 0xc0                             // 000000002E68: C0021000 000000C0
	s_load_dword s65, s[0:1], 0xd0                             // 000000002E70: C0021040 000000D0
	s_load_dword s66, s[0:1], 0xe0                             // 000000002E78: C0021080 000000E0
	s_load_dword s67, s[0:1], 0xf0                             // 000000002E80: C00210C0 000000F0
	s_load_dword s68, s[0:1], 0x100                            // 000000002E88: C0021100 00000100
	s_load_dword s69, s[0:1], 0x110                            // 000000002E90: C0021140 00000110
	s_load_dword s70, s[0:1], 0x120                            // 000000002E98: C0021180 00000120
	s_load_dword s71, s[0:1], 0x130                            // 000000002EA0: C00211C0 00000130
	s_load_dword s72, s[0:1], 0x140                            // 000000002EA8: C0021200 00000140
	s_load_dword s73, s[0:1], 0x150                            // 000000002EB0: C0021240 00000150
	s_load_dword s74, s[0:1], 0x160                            // 000000002EB8: C0021280 00000160
	s_load_dword s75, s[0:1], 0x170                            // 000000002EC0: C00212C0 00000170
	s_load_dword s76, s[0:1], 0x180                            // 000000002EC8: C0021300 00000180
	s_load_dword s63, s[0:1], 0x190                            // 000000002ED0: C0020FC0 00000190
	v_lshrrev_b32_e32 v1, 10, v0                               // 000000002ED8: 2002008A
	v_lshrrev_b32_e32 v2, 10, v1                               // 000000002EDC: 2004028A
	v_and_b32_e32 v2, 0x3ff, v2                                // 000000002EE0: 260404FF 000003FF
	v_and_b32_e32 v1, 0x3ff, v1                                // 000000002EE8: 260202FF 000003FF
	v_and_b32_e32 v0, 0x3ff, v0                                // 000000002EF0: 260000FF 000003FF
	v_lshrrev_b32_e32 v3, 6, v0                                // 000000002EF8: 20060086
	v_and_b32_e32 v0, 63, v0                                   // 000000002EFC: 260000BF
	s_mov_b32 s2, s2                                           // 000000002F00: BE820002
	s_mov_b32 s3, s3                                           // 000000002F04: BE830003
	s_mov_b32 s4, s4                                           // 000000002F08: BE840004
	v_readfirstlane_b32 s7, v3                                 // 000000002F0C: 7E0E0503
	s_waitcnt lgkmcnt(0)                                       // 000000002F10: BF8CC07F
	s_and_b32 s51, s51, 0xffff                                 // 000000002F14: 8633FF33 0000FFFF
	s_load_dword s50, s[50:51], 0x0                            // 000000002F1C: C0020C99 00000000
	s_and_b32 s45, s45, 0xffff                                 // 000000002F24: 862DFF2D 0000FFFF
	s_and_b32 s47, s47, 0xffff                                 // 000000002F2C: 862FFF2F 0000FFFF
	s_and_b32 s9, s9, 0xffff                                   // 000000002F34: 8609FF09 0000FFFF
	s_mul_i32 s60, s66, s68                                    // 000000002F3C: 923C4442
	s_mul_i32 s60, s63, s60                                    // 000000002F40: 923C3C3F
	s_mul_i32 s61, s66, 4                                      // 000000002F44: 923D8442
	s_mul_i32 s61, s63, s61                                    // 000000002F48: 923D3D3F
	s_mov_b32 s22, s60                                         // 000000002F4C: BE96003C
	s_mov_b32 s26, -16                                         // 000000002F50: BE9A00D0
	s_mov_b32 s14, -16                                         // 000000002F54: BE8E00D0
	s_mov_b32 s42, -16                                         // 000000002F58: BEAA00D0
	s_mov_b32 s30, s61                                         // 000000002F5C: BE9E003D
	s_mov_b32 s34, 0x700                                       // 000000002F60: BEA200FF 00000700
	s_mov_b32 s38, 0x700                                       // 000000002F68: BEA600FF 00000700
	s_mov_b32 s18, -16                                         // 000000002F70: BE9200D0
	s_mov_b32 s23, 0x20000                                     // 000000002F74: BE9700FF 00020000
	s_mov_b32 s27, 0x20000                                     // 000000002F7C: BE9B00FF 00020000
	s_mov_b32 s15, 0x20000                                     // 000000002F84: BE8F00FF 00020000
	s_mov_b32 s43, 0x20000                                     // 000000002F8C: BEAB00FF 00020000
	s_mov_b32 s31, 0x20000                                     // 000000002F94: BE9F00FF 00020000
	s_mov_b32 s35, 0x20000                                     // 000000002F9C: BEA300FF 00020000
	s_mov_b32 s39, 0x20000                                     // 000000002FA4: BEA700FF 00020000
	s_mov_b32 s19, 0x20000                                     // 000000002FAC: BE9300FF 00020000
	s_and_b32 s21, s21, 0xffff                                 // 000000002FB4: 8615FF15 0000FFFF
	s_and_b32 s25, s25, 0xffff                                 // 000000002FBC: 8619FF19 0000FFFF
	s_and_b32 s13, s13, 0xffff                                 // 000000002FC4: 860DFF0D 0000FFFF
	s_and_b32 s41, s41, 0xffff                                 // 000000002FCC: 8629FF29 0000FFFF
	s_and_b32 s29, s29, 0xffff                                 // 000000002FD4: 861DFF1D 0000FFFF
	s_and_b32 s33, s33, 0xffff                                 // 000000002FDC: 8621FF21 0000FFFF
	s_and_b32 s37, s37, 0xffff                                 // 000000002FE4: 8625FF25 0000FFFF
	s_and_b32 s17, s17, 0xffff                                 // 000000002FEC: 8611FF11 0000FFFF
	s_or_b32 s21, s21, 0x40000                                 // 000000002FF4: 8715FF15 00040000
	s_or_b32 s25, s25, 0x40000                                 // 000000002FFC: 8719FF19 00040000
	s_or_b32 s13, s13, 0x40000                                 // 000000003004: 870DFF0D 00040000
	s_or_b32 s41, s41, 0x40000                                 // 00000000300C: 8729FF29 00040000
	s_or_b32 s29, s29, 0x40000                                 // 000000003014: 871DFF1D 00040000
	s_or_b32 s33, s33, 0x40000                                 // 00000000301C: 8721FF21 00040000
	s_or_b32 s37, s37, 0x40000                                 // 000000003024: 8725FF25 00040000
	s_or_b32 s17, s17, 0x40000                                 // 00000000302C: 8711FF11 00040000
	v_accvgpr_write_b32 a223, 0                                // 000000003034: D3D940DF 18000080
	v_mov_b32_e32 v247, 0                                      // 00000000303C: 7FEE0280
	s_waitcnt lgkmcnt(0)                                       // 000000003040: BF8CC07F
	s_mul_i32 s60, s3, 32                                      // 000000003044: 923CA003
	s_cmp_lt_i32 s60, s50                                      // 000000003048: BF04323C
	s_cbranch_scc0 label_279E                                  // 00000000304C: BF84270A
	s_mov_b32 s80, 0                                           // 000000003050: BED00080
	s_mov_b32 s81, s64                                         // 000000003054: BED10040
	s_mul_i32 s60, s3, 4                                       // 000000003058: 923C8403
	s_add_u32 s46, s60, s46                                    // 00000000305C: 802E2E3C
	s_addc_u32 s47, 0, s47                                     // 000000003060: 822F2F80
	s_load_dword s5, s[46:47], 0x0                             // 000000003064: C0020157 00000000
	s_mul_i32 s60, s3, 32                                      // 00000000306C: 923CA003
	s_mul_i32 s60, 4, s60                                      // 000000003070: 923C3C84
	v_and_b32_e32 v52, 15, v0                                  // 000000003074: 2668008F
	v_lshlrev_b32_e32 v52, 2, v52                              // 000000003078: 24686882
	v_add_u32_e32 v52, s60, v52                                // 00000000307C: 6868683C
	v_mov_b32_e32 v53, 0                                       // 000000003080: 7E6A0280
	global_load_dword v6, v52, s[44:45]                        // 000000003084: DC508000 062C0034
	v_add_u32_e32 v52, 64, v52                                 // 00000000308C: 686868C0
	global_load_dword v7, v52, s[44:45]                        // 000000003090: DC508000 072C0034
	s_mul_i32 s60, s3, 32                                      // 000000003098: 923CA003
	s_add_u32 s60, s7, s60                                     // 00000000309C: 803C3C07
	s_mul_i32 s60, 4, s60                                      // 0000000030A0: 923C3C84
	s_add_u32 s44, s60, s44                                    // 0000000030A4: 802C2C3C
	s_addc_u32 s45, 0, s45                                     // 0000000030A8: 822D2D80
	s_load_dword s82, s[44:45], 0x0                            // 0000000030AC: C0021496 00000000
	s_load_dword s83, s[44:45], 0x10                           // 0000000030B4: C00214D6 00000010
	s_load_dword s84, s[44:45], 0x20                           // 0000000030BC: C0021516 00000020
	s_load_dword s85, s[44:45], 0x30                           // 0000000030C4: C0021556 00000030
	s_load_dword s86, s[44:45], 0x40                           // 0000000030CC: C0021596 00000040
	s_load_dword s87, s[44:45], 0x50                           // 0000000030D4: C00215D6 00000050
	s_load_dword s88, s[44:45], 0x60                           // 0000000030DC: C0021616 00000060
	s_load_dword s89, s[44:45], 0x70                           // 0000000030E4: C0021656 00000070
	s_waitcnt lgkmcnt(0)                                       // 0000000030EC: BF8CC07F
	v_lshlrev_b32_e32 v52, 2, v0                               // 0000000030F0: 24680082
	s_lshr_b32 s61, s82, 24                                    // 0000000030F4: 8F3D9852
	s_mul_i32 s61, s61, s68                                    // 0000000030F8: 923D443D
	s_mul_i32 s61, s61, s66                                    // 0000000030FC: 923D423D
	s_and_b32 s82, s82, 0xffffff                               // 000000003100: 8652FF52 00FFFFFF
	s_mul_i32 s60, s82, s68                                    // 000000003108: 923C4452
	s_add_u32 s60, s61, s60                                    // 00000000310C: 803C3C3D
	v_add_u32_e64 v26, v52, s60                                // 000000003110: D134001A 00007934
	s_lshr_b32 s61, s83, 24                                    // 000000003118: 8F3D9853
	s_mul_i32 s61, s61, s68                                    // 00000000311C: 923D443D
	s_mul_i32 s61, s61, s66                                    // 000000003120: 923D423D
	s_and_b32 s83, s83, 0xffffff                               // 000000003124: 8653FF53 00FFFFFF
	s_mul_i32 s60, s83, s68                                    // 00000000312C: 923C4453
	s_add_u32 s60, s61, s60                                    // 000000003130: 803C3C3D
	v_add_u32_e64 v27, v52, s60                                // 000000003134: D134001B 00007934
	s_lshr_b32 s61, s84, 24                                    // 00000000313C: 8F3D9854
	s_mul_i32 s61, s61, s68                                    // 000000003140: 923D443D
	s_mul_i32 s61, s61, s66                                    // 000000003144: 923D423D
	s_and_b32 s84, s84, 0xffffff                               // 000000003148: 8654FF54 00FFFFFF
	s_mul_i32 s60, s84, s68                                    // 000000003150: 923C4454
	s_add_u32 s60, s61, s60                                    // 000000003154: 803C3C3D
	v_add_u32_e64 v28, v52, s60                                // 000000003158: D134001C 00007934
	s_lshr_b32 s61, s85, 24                                    // 000000003160: 8F3D9855
	s_mul_i32 s61, s61, s68                                    // 000000003164: 923D443D
	s_mul_i32 s61, s61, s66                                    // 000000003168: 923D423D
	s_and_b32 s85, s85, 0xffffff                               // 00000000316C: 8655FF55 00FFFFFF
	s_mul_i32 s60, s85, s68                                    // 000000003174: 923C4455
	s_add_u32 s60, s61, s60                                    // 000000003178: 803C3C3D
	v_add_u32_e64 v29, v52, s60                                // 00000000317C: D134001D 00007934
	s_lshr_b32 s61, s86, 24                                    // 000000003184: 8F3D9856
	s_mul_i32 s61, s61, s68                                    // 000000003188: 923D443D
	s_mul_i32 s61, s61, s66                                    // 00000000318C: 923D423D
	s_and_b32 s86, s86, 0xffffff                               // 000000003190: 8656FF56 00FFFFFF
	s_mul_i32 s60, s86, s68                                    // 000000003198: 923C4456
	s_add_u32 s60, s61, s60                                    // 00000000319C: 803C3C3D
	v_add_u32_e64 v30, v52, s60                                // 0000000031A0: D134001E 00007934
	s_lshr_b32 s61, s87, 24                                    // 0000000031A8: 8F3D9857
	s_mul_i32 s61, s61, s68                                    // 0000000031AC: 923D443D
	s_mul_i32 s61, s61, s66                                    // 0000000031B0: 923D423D
	s_and_b32 s87, s87, 0xffffff                               // 0000000031B4: 8657FF57 00FFFFFF
	s_mul_i32 s60, s87, s68                                    // 0000000031BC: 923C4457
	s_add_u32 s60, s61, s60                                    // 0000000031C0: 803C3C3D
	v_add_u32_e64 v31, v52, s60                                // 0000000031C4: D134001F 00007934
	s_lshr_b32 s61, s88, 24                                    // 0000000031CC: 8F3D9858
	s_mul_i32 s61, s61, s68                                    // 0000000031D0: 923D443D
	s_mul_i32 s61, s61, s66                                    // 0000000031D4: 923D423D
	s_and_b32 s88, s88, 0xffffff                               // 0000000031D8: 8658FF58 00FFFFFF
	s_mul_i32 s60, s88, s68                                    // 0000000031E0: 923C4458
	s_add_u32 s60, s61, s60                                    // 0000000031E4: 803C3C3D
	v_add_u32_e64 v32, v52, s60                                // 0000000031E8: D1340020 00007934
	s_lshr_b32 s61, s89, 24                                    // 0000000031F0: 8F3D9859
	s_mul_i32 s61, s61, s68                                    // 0000000031F4: 923D443D
	s_mul_i32 s61, s61, s66                                    // 0000000031F8: 923D423D
	s_and_b32 s89, s89, 0xffffff                               // 0000000031FC: 8659FF59 00FFFFFF
	s_mul_i32 s60, s89, s68                                    // 000000003204: 923C4459
	s_add_u32 s60, s61, s60                                    // 000000003208: 803C3C3D
	v_add_u32_e64 v33, v52, s60                                // 00000000320C: D1340021 00007934
	v_lshlrev_b32_e32 v52, 2, v0                               // 000000003214: 24680082
	s_mul_i32 s60, s82, s71                                    // 000000003218: 923C4752
	v_add_u32_e64 v80, v52, s60                                // 00000000321C: D1340050 00007934
	v_mov_b32_e32 v81, 0                                       // 000000003224: 7EA20280
	s_mul_i32 s60, s83, s71                                    // 000000003228: 923C4753
	v_add_u32_e64 v82, v52, s60                                // 00000000322C: D1340052 00007934
	v_mov_b32_e32 v83, 0                                       // 000000003234: 7EA60280
	s_mul_i32 s60, s84, s71                                    // 000000003238: 923C4754
	v_add_u32_e64 v84, v52, s60                                // 00000000323C: D1340054 00007934
	v_mov_b32_e32 v85, 0                                       // 000000003244: 7EAA0280
	s_mul_i32 s60, s85, s71                                    // 000000003248: 923C4755
	v_add_u32_e64 v86, v52, s60                                // 00000000324C: D1340056 00007934
	v_mov_b32_e32 v87, 0                                       // 000000003254: 7EAE0280
	s_mul_i32 s60, s86, s71                                    // 000000003258: 923C4756
	v_add_u32_e64 v88, v52, s60                                // 00000000325C: D1340058 00007934
	v_mov_b32_e32 v89, 0                                       // 000000003264: 7EB20280
	s_mul_i32 s60, s87, s71                                    // 000000003268: 923C4757
	v_add_u32_e64 v90, v52, s60                                // 00000000326C: D134005A 00007934
	v_mov_b32_e32 v91, 0                                       // 000000003274: 7EB60280
	s_mul_i32 s60, s88, s71                                    // 000000003278: 923C4758
	v_add_u32_e64 v92, v52, s60                                // 00000000327C: D134005C 00007934
	v_mov_b32_e32 v93, 0                                       // 000000003284: 7EBA0280
	s_mul_i32 s60, s89, s71                                    // 000000003288: 923C4759
	v_add_u32_e64 v94, v52, s60                                // 00000000328C: D134005E 00007934
	v_mov_b32_e32 v95, 0                                       // 000000003294: 7EBE0280
	s_mul_i32 s60, s7, 0x820                                   // 000000003298: 923CFF07 00000820
	s_add_u32 s50, 0, s60                                      // 0000000032A0: 80323C80
	s_add_u32 s51, 0x2080, s50                                 // 0000000032A4: 803332FF 00002080
	v_lshrrev_b32_e32 v52, 4, v0                               // 0000000032AC: 20680084
	v_lshlrev_b32_e32 v53, 2, v52                              // 0000000032B0: 246A6882
	v_and_b32_e32 v52, 15, v0                                  // 0000000032B4: 2668008F
	v_lshrrev_b32_e32 v54, 2, v52                              // 0000000032B8: 206C6882
	v_lshlrev_b32_e32 v54, 6, v54                              // 0000000032BC: 246C6C86
	v_add_u32_e32 v53, v54, v53                                // 0000000032C0: 686A6B36
	v_and_b32_e32 v52, 3, v0                                   // 0000000032C4: 26680083
	v_mul_i32_i24_e32 v54, 0x208, v52                          // 0000000032C8: 0C6C68FF 00000208
	v_add_u32_e32 v53, v54, v53                                // 0000000032D0: 686A6B36
	v_lshlrev_b32_e32 v2, 2, v53                               // 0000000032D4: 24046A82
	s_mul_i32 s60, s2, 0x1c0                                   // 0000000032D8: 923CFF02 000001C0
	s_mul_i32 s60, s60, s69                                    // 0000000032E0: 923C453C
	s_mul_i32 s61, s5, s72                                     // 0000000032E4: 923D4805
	s_add_u32 s60, s61, s60                                    // 0000000032E8: 803C3C3D
	s_add_u32 s24, s60, s24                                    // 0000000032EC: 8018183C
	s_addc_u32 s25, 0, s25                                     // 0000000032F0: 82191980
	s_mul_i32 s60, s7, 16                                      // 0000000032F4: 923C9007
	s_mul_i32 s60, s60, s69                                    // 0000000032F8: 923C453C
	v_lshlrev_b32_e32 v34, 4, v0                               // 0000000032FC: 24440084
	v_add_u32_e32 v34, s60, v34                                // 000000003300: 6844443C
	s_mul_i32 s60, 64, s69                                     // 000000003304: 923C45C0
	v_add_u32_e32 v35, s60, v34                                // 000000003308: 6846443C
	v_add_u32_e32 v36, s60, v35                                // 00000000330C: 6848463C
	v_add_u32_e32 v37, s60, v36                                // 000000003310: 684A483C
	v_add_u32_e32 v38, s60, v37                                // 000000003314: 684C4A3C
	v_add_u32_e32 v39, s60, v38                                // 000000003318: 684E4C3C
	v_add_u32_e32 v40, s60, v39                                // 00000000331C: 68504E3C
	s_mov_b32 s92, s24                                         // 000000003320: BEDC0018
	s_mov_b32 s93, s25                                         // 000000003324: BEDD0019
	s_mov_b32 s94, s26                                         // 000000003328: BEDE001A
	s_mov_b32 s95, s27                                         // 00000000332C: BEDF001B
	s_mul_i32 s60, s69, s65                                    // 000000003330: 923C4145
	s_add_u32 s92, s60, s92                                    // 000000003334: 805C5C3C
	s_addc_u32 s93, 0, s93                                     // 000000003338: 825D5D80
	s_mul_i32 s60, s2, 0x1c00                                  // 00000000333C: 923CFF02 00001C00
	s_mul_i32 s61, s5, s73                                     // 000000003344: 923D4905
	s_add_u32 s60, s61, s60                                    // 000000003348: 803C3C3D
	s_add_u32 s12, s60, s12                                    // 00000000334C: 800C0C3C
	s_addc_u32 s13, 0, s13                                     // 000000003350: 820D0D80
	s_mul_i32 s60, s7, 16                                      // 000000003354: 923C9007
	s_mul_i32 s60, s60, s70                                    // 000000003358: 923C463C
	v_lshlrev_b32_e32 v41, 4, v0                               // 00000000335C: 24520084
	v_add_u32_e32 v41, s60, v41                                // 000000003360: 6852523C
	s_mul_i32 s60, 64, s70                                     // 000000003364: 923C46C0
	v_add_u32_e32 v42, s60, v41                                // 000000003368: 6854523C
	v_add_u32_e32 v43, s60, v42                                // 00000000336C: 6856543C
	v_add_u32_e32 v44, s60, v43                                // 000000003370: 6858563C
	s_mul_i32 s60, s70, 0x100                                  // 000000003374: 923CFF46 00000100
	s_mov_b32 s78, 0x400                                       // 00000000337C: BECE00FF 00000400
	s_mul_i32 s61, s78, 6                                      // 000000003384: 923D864E
	s_sub_u32 s56, s60, s61                                    // 000000003388: 80B83D3C
	s_mul_i32 s60, s3, 32                                      // 00000000338C: 923CA003
	s_mul_i32 s60, 4, s60                                      // 000000003390: 923C3C84
	s_add_u32 s40, s60, s40                                    // 000000003394: 8028283C
	s_addc_u32 s41, 0, s41                                     // 000000003398: 82292980
	v_and_b32_e32 v52, 15, v0                                  // 00000000339C: 2668008F
	v_lshlrev_b32_e32 v8, 2, v52                               // 0000000033A0: 24106882
	v_add_u32_e32 v9, 64, v8                                   // 0000000033A4: 681210C0
	v_lshrrev_b32_e32 v52, 4, v0                               // 0000000033A8: 20680084
	v_lshlrev_b32_e32 v53, 2, v52                              // 0000000033AC: 246A6882
	v_and_b32_e32 v52, 15, v0                                  // 0000000033B0: 2668008F
	v_lshrrev_b32_e32 v54, 2, v52                              // 0000000033B4: 206C6882
	v_lshlrev_b32_e32 v54, 6, v54                              // 0000000033B8: 246C6C86
	v_add_u32_e32 v53, v54, v53                                // 0000000033BC: 686A6B36
	v_and_b32_e32 v52, 3, v0                                   // 0000000033C0: 26680083
	v_add_u32_e32 v53, v52, v53                                // 0000000033C4: 686A6B34
	v_lshlrev_b32_e32 v10, 2, v53                              // 0000000033C8: 24146A82
	v_add_u32_e32 v11, 0x400, v10                              // 0000000033CC: 681614FF 00000400
	s_mul_i32 s60, s7, 16                                      // 0000000033D4: 923C9007
	s_mul_i32 s60, s60, 4                                      // 0000000033D8: 923C843C
	v_add_u32_e32 v10, s60, v10                                // 0000000033DC: 6814143C
	v_add_u32_e32 v11, s60, v11                                // 0000000033E0: 6816163C
	v_mov_b32_e32 v5, v10                                      // 0000000033E4: 7E0A030A
	s_mul_i32 s60, s2, 0x1c0                                   // 0000000033E8: 923CFF02 000001C0
	s_mul_i32 s60, s60, 4                                      // 0000000033F0: 923C843C
	s_mul_i32 s61, s5, s74                                     // 0000000033F4: 923D4A05
	s_add_u32 s61, s61, s60                                    // 0000000033F8: 803D3C3D
	s_mul_i32 s62, s5, s76                                     // 0000000033FC: 923E4C05
	s_add_u32 s62, s62, s60                                    // 000000003400: 803E3C3E
	s_add_u32 s32, s61, s32                                    // 000000003404: 8020203D
	s_addc_u32 s33, 0, s33                                     // 000000003408: 82212180
	s_add_u32 s36, s62, s36                                    // 00000000340C: 8024243E
	s_addc_u32 s37, 0, s37                                     // 000000003410: 82252580
	s_mul_i32 s60, s5, s75                                     // 000000003414: 923C4B05
	s_add_u32 s16, s60, s16                                    // 000000003418: 8010103C
	s_addc_u32 s17, 0, s17                                     // 00000000341C: 82111180
	s_mov_b32 s57, 0x100                                       // 000000003420: BEB900FF 00000100
	s_mov_b32 s58, 0x1000                                      // 000000003428: BEBA00FF 00001000
	s_mov_b32 s79, 0x400                                       // 000000003430: BECF00FF 00000400
	s_mov_b32 s59, 0x200                                       // 000000003438: BEBB00FF 00000200
	s_mov_b32 s90, s58                                         // 000000003440: BEDA003A
	s_mov_b32 s52, 0x7060302                                   // 000000003444: BEB400FF 07060302
	s_mov_b32 s53, 0x400                                       // 00000000344C: BEB500FF 00000400
	s_mov_b32 s54, 0x40100                                     // 000000003454: BEB600FF 00040100
	s_mov_b32 s55, 0x4020100                                   // 00000000345C: BEB700FF 04020100
	s_mov_b32 s6, 0x3fb8aa3b                                   // 000000003464: BE8600FF 3FB8AA3B
	s_mov_b32 s77, 0xbd92220c                                  // 00000000346C: BECD00FF BD92220C
	s_mov_b32 m0, s50                                          // 000000003474: BEFC0032
	v_mov_b32_e32 v1, 0xbfcc4231                               // 000000003478: 7E0202FF BFCC4231
	v_mov_b32_e32 v46, 0xffff0000                              // 000000003480: 7E5C02FF FFFF0000
	v_mov_b32_e32 v47, 0x7fff0000                              // 000000003488: 7E5E02FF 7FFF0000
	v_mov_b32_e32 v48, 0x7fff                                  // 000000003490: 7E6002FF 00007FFF
	s_waitcnt vmcnt(0) expcnt(0) lgkmcnt(0)                    // 000000003498: BF8C0000
	v_lshrrev_b32_e32 v52, 24, v6                              // 00000000349C: 20680C98
	v_mul_i32_i24_e32 v52, s66, v52                            // 0000000034A0: 0C686842
	v_and_b32_e32 v53, 0xffffff, v6                            // 0000000034A4: 266A0CFF 00FFFFFF
	v_add_u32_e32 v6, v52, v53                                 // 0000000034AC: 680C6B34
	v_lshrrev_b32_e32 v52, 24, v7                              // 0000000034B0: 20680E98
	v_mul_i32_i24_e32 v52, s66, v52                            // 0000000034B4: 0C686842
	v_and_b32_e32 v53, 0xffffff, v7                            // 0000000034B8: 266A0EFF 00FFFFFF
	v_add_u32_e32 v7, v52, v53                                 // 0000000034C0: 680E6B34
	v_lshlrev_b32_e32 v6, 2, v6                                // 0000000034C4: 240C0C82
	v_lshlrev_b32_e32 v7, 2, v7                                // 0000000034C8: 240E0E82
	buffer_load_dword v14, v6, s[28:31], 0 offen               // 0000000034CC: E0501000 80070E06
	buffer_load_dword v15, v7, s[28:31], 0 offen               // 0000000034D4: E0501000 80070F07
	buffer_load_dword v16, v10, s[32:35], 0 offen              // 0000000034DC: E0501000 8008100A
	buffer_load_dword v17, v11, s[32:35], 0 offen              // 0000000034E4: E0501000 8008110B
	s_mul_i32 s60, 4, s65                                      // 0000000034EC: 923C4184
	s_add_u32 s32, s60, s32                                    // 0000000034F0: 8020203C
	s_addc_u32 s33, 0, s33                                     // 0000000034F4: 82212180
	buffer_load_dword v49, v10, s[32:35], 0 offen              // 0000000034F8: E0501000 8008310A
	buffer_load_dword v50, v11, s[32:35], 0 offen              // 000000003500: E0501000 8008320B
	buffer_load_dword v18, v10, s[36:39], 0 offen              // 000000003508: E0501000 8009120A
	buffer_load_dword v19, v11, s[36:39], 0 offen              // 000000003510: E0501000 8009130B
	buffer_load_dword v20, v8, s[40:43], 0 offen               // 000000003518: E0501000 800A1408
	buffer_load_dword v21, v9, s[40:43], 0 offen               // 000000003520: E0501000 800A1509
	buffer_load_dword v26, s[20:23], 0 offen lds               // 000000003528: E0511000 8005001A
	s_add_u32 m0, 0x100, s50                                   // 000000003530: 807C32FF 00000100
	buffer_load_dword v27, s[20:23], 0 offen lds               // 000000003538: E0511000 8005001B
	s_add_u32 m0, 0x200, s50                                   // 000000003540: 807C32FF 00000200
	buffer_load_dword v28, s[20:23], 0 offen lds               // 000000003548: E0511000 8005001C
	s_add_u32 m0, 0x300, s50                                   // 000000003550: 807C32FF 00000300
	buffer_load_dword v29, s[20:23], 0 offen lds               // 000000003558: E0511000 8005001D
	s_add_u32 m0, 0x400, s50                                   // 000000003560: 807C32FF 00000400
	buffer_load_dword v30, s[20:23], 0 offen lds               // 000000003568: E0511000 8005001E
	s_add_u32 m0, 0x500, s50                                   // 000000003570: 807C32FF 00000500
	buffer_load_dword v31, s[20:23], 0 offen lds               // 000000003578: E0511000 8005001F
	s_add_u32 m0, 0x600, s50                                   // 000000003580: 807C32FF 00000600
	buffer_load_dword v32, s[20:23], 0 offen lds               // 000000003588: E0511000 80050020
	s_add_u32 m0, 0x700, s50                                   // 000000003590: 807C32FF 00000700
	buffer_load_dword v33, s[20:23], 0 offen lds               // 000000003598: E0511000 80050021
	s_add_u32 m0, 0, s51                                       // 0000000035A0: 807C3380
	s_add_u32 s20, s57, s20                                    // 0000000035A4: 80141439
	s_addc_u32 s21, 0, s21                                     // 0000000035A8: 82151580
	buffer_load_dwordx4 a[0:3], v34, s[24:27], 0 offen         // 0000000035AC: E05C1000 80860022
	buffer_load_dwordx4 a[4:7], v34, s[24:27], 0 offen offset:1024// 0000000035B4: E05C1400 80860422
	buffer_load_dwordx4 a[8:11], v34, s[24:27], 0 offen offset:2048// 0000000035BC: E05C1800 80860822
	buffer_load_dwordx4 a[12:15], v34, s[24:27], 0 offen offset:3072// 0000000035C4: E05C1C00 80860C22
	buffer_load_dwordx4 a[16:19], v35, s[24:27], 0 offen       // 0000000035CC: E05C1000 80861023
	buffer_load_dwordx4 a[20:23], v35, s[24:27], 0 offen offset:1024// 0000000035D4: E05C1400 80861423
	buffer_load_dwordx4 a[24:27], v35, s[24:27], 0 offen offset:2048// 0000000035DC: E05C1800 80861823
	buffer_load_dwordx4 a[28:31], v35, s[24:27], 0 offen offset:3072// 0000000035E4: E05C1C00 80861C23
	buffer_load_dwordx4 a[32:35], v36, s[24:27], 0 offen       // 0000000035EC: E05C1000 80862024
	buffer_load_dwordx4 a[36:39], v36, s[24:27], 0 offen offset:1024// 0000000035F4: E05C1400 80862424
	buffer_load_dwordx4 a[40:43], v36, s[24:27], 0 offen offset:2048// 0000000035FC: E05C1800 80862824
	buffer_load_dwordx4 a[44:47], v36, s[24:27], 0 offen offset:3072// 000000003604: E05C1C00 80862C24
	buffer_load_dwordx4 a[48:51], v37, s[24:27], 0 offen       // 00000000360C: E05C1000 80863025
	buffer_load_dwordx4 a[52:55], v37, s[24:27], 0 offen offset:1024// 000000003614: E05C1400 80863425
	buffer_load_dwordx4 a[56:59], v37, s[24:27], 0 offen offset:2048// 00000000361C: E05C1800 80863825
	buffer_load_dwordx4 a[60:63], v37, s[24:27], 0 offen offset:3072// 000000003624: E05C1C00 80863C25
	buffer_load_dwordx4 a[64:67], v38, s[24:27], 0 offen       // 00000000362C: E05C1000 80864026
	buffer_load_dwordx4 a[68:71], v38, s[24:27], 0 offen offset:1024// 000000003634: E05C1400 80864426
	buffer_load_dwordx4 a[72:75], v38, s[24:27], 0 offen offset:2048// 00000000363C: E05C1800 80864826
	buffer_load_dwordx4 a[76:79], v38, s[24:27], 0 offen offset:3072// 000000003644: E05C1C00 80864C26
	buffer_load_dwordx4 a[80:83], v39, s[24:27], 0 offen       // 00000000364C: E05C1000 80865027
	buffer_load_dwordx4 a[84:87], v39, s[24:27], 0 offen offset:1024// 000000003654: E05C1400 80865427
	buffer_load_dwordx4 a[88:91], v39, s[24:27], 0 offen offset:2048// 00000000365C: E05C1800 80865827
	buffer_load_dwordx4 a[92:95], v39, s[24:27], 0 offen offset:3072// 000000003664: E05C1C00 80865C27
	buffer_load_dwordx4 a[96:99], v40, s[24:27], 0 offen       // 00000000366C: E05C1000 80866028
	buffer_load_dwordx4 a[100:103], v40, s[24:27], 0 offen offset:1024// 000000003674: E05C1400 80866428
	buffer_load_dwordx4 a[104:107], v40, s[24:27], 0 offen offset:2048// 00000000367C: E05C1800 80866828
	buffer_load_dwordx4 a[108:111], v40, s[24:27], 0 offen offset:3072// 000000003684: E05C1C00 80866C28
	s_add_u32 s24, s58, s24                                    // 00000000368C: 8018183A
	s_addc_u32 s25, 0, s25                                     // 000000003690: 82191980
	v_mov_b32_e32 v128, 0                                      // 000000003694: 7F000280
	v_mov_b32_e32 v64, 0                                       // 000000003698: 7E800280
	v_mov_b32_e32 v129, 0                                      // 00000000369C: 7F020280
	v_mov_b32_e32 v65, 0                                       // 0000000036A0: 7E820280
	v_mov_b32_e32 v130, 0                                      // 0000000036A4: 7F040280
	v_mov_b32_e32 v66, 0                                       // 0000000036A8: 7E840280
	v_mov_b32_e32 v131, 0                                      // 0000000036AC: 7F060280
	v_mov_b32_e32 v67, 0                                       // 0000000036B0: 7E860280
	v_mov_b32_e32 v132, 0                                      // 0000000036B4: 7F080280
	v_mov_b32_e32 v68, 0                                       // 0000000036B8: 7E880280
	v_mov_b32_e32 v133, 0                                      // 0000000036BC: 7F0A0280
	v_mov_b32_e32 v69, 0                                       // 0000000036C0: 7E8A0280
	v_mov_b32_e32 v134, 0                                      // 0000000036C4: 7F0C0280
	v_mov_b32_e32 v70, 0                                       // 0000000036C8: 7E8C0280
	v_mov_b32_e32 v135, 0                                      // 0000000036CC: 7F0E0280
	v_mov_b32_e32 v71, 0                                       // 0000000036D0: 7E8E0280
	v_mov_b32_e32 v136, 0                                      // 0000000036D4: 7F100280
	v_mov_b32_e32 v72, 0                                       // 0000000036D8: 7E900280
	v_mov_b32_e32 v137, 0                                      // 0000000036DC: 7F120280
	v_mov_b32_e32 v73, 0                                       // 0000000036E0: 7E920280
	v_mov_b32_e32 v138, 0                                      // 0000000036E4: 7F140280
	v_mov_b32_e32 v74, 0                                       // 0000000036E8: 7E940280
	v_mov_b32_e32 v139, 0                                      // 0000000036EC: 7F160280
	v_mov_b32_e32 v75, 0                                       // 0000000036F0: 7E960280
	v_mov_b32_e32 v140, 0                                      // 0000000036F4: 7F180280
	v_mov_b32_e32 v76, 0                                       // 0000000036F8: 7E980280
	v_mov_b32_e32 v141, 0                                      // 0000000036FC: 7F1A0280
	v_mov_b32_e32 v77, 0                                       // 000000003700: 7E9A0280
	v_mov_b32_e32 v142, 0                                      // 000000003704: 7F1C0280
	v_mov_b32_e32 v78, 0                                       // 000000003708: 7E9C0280
	v_mov_b32_e32 v143, 0                                      // 00000000370C: 7F1E0280
	v_mov_b32_e32 v79, 0                                       // 000000003710: 7E9E0280
	v_mov_b32_e32 v144, 0                                      // 000000003714: 7F200280
	v_mov_b32_e32 v80, 0                                       // 000000003718: 7EA00280
	v_mov_b32_e32 v145, 0                                      // 00000000371C: 7F220280
	v_mov_b32_e32 v81, 0                                       // 000000003720: 7EA20280
	v_mov_b32_e32 v146, 0                                      // 000000003724: 7F240280
	v_mov_b32_e32 v82, 0                                       // 000000003728: 7EA40280
	v_mov_b32_e32 v147, 0                                      // 00000000372C: 7F260280
	v_mov_b32_e32 v83, 0                                       // 000000003730: 7EA60280
	v_mov_b32_e32 v148, 0                                      // 000000003734: 7F280280
	v_mov_b32_e32 v84, 0                                       // 000000003738: 7EA80280
	v_mov_b32_e32 v149, 0                                      // 00000000373C: 7F2A0280
	v_mov_b32_e32 v85, 0                                       // 000000003740: 7EAA0280
	v_mov_b32_e32 v150, 0                                      // 000000003744: 7F2C0280
	v_mov_b32_e32 v86, 0                                       // 000000003748: 7EAC0280
	v_mov_b32_e32 v151, 0                                      // 00000000374C: 7F2E0280
	v_mov_b32_e32 v87, 0                                       // 000000003750: 7EAE0280
	v_mov_b32_e32 v152, 0                                      // 000000003754: 7F300280
	v_mov_b32_e32 v88, 0                                       // 000000003758: 7EB00280
	v_mov_b32_e32 v153, 0                                      // 00000000375C: 7F320280
	v_mov_b32_e32 v89, 0                                       // 000000003760: 7EB20280
	v_mov_b32_e32 v154, 0                                      // 000000003764: 7F340280
	v_mov_b32_e32 v90, 0                                       // 000000003768: 7EB40280
	v_mov_b32_e32 v155, 0                                      // 00000000376C: 7F360280
	v_mov_b32_e32 v91, 0                                       // 000000003770: 7EB60280
	v_mov_b32_e32 v156, 0                                      // 000000003774: 7F380280
	v_mov_b32_e32 v92, 0                                       // 000000003778: 7EB80280
	v_mov_b32_e32 v157, 0                                      // 00000000377C: 7F3A0280
	v_mov_b32_e32 v93, 0                                       // 000000003780: 7EBA0280
	v_mov_b32_e32 v158, 0                                      // 000000003784: 7F3C0280
	v_mov_b32_e32 v94, 0                                       // 000000003788: 7EBC0280
	v_mov_b32_e32 v159, 0                                      // 00000000378C: 7F3E0280
	v_mov_b32_e32 v95, 0                                       // 000000003790: 7EBE0280
	v_mov_b32_e32 v160, 0                                      // 000000003794: 7F400280
	v_mov_b32_e32 v96, 0                                       // 000000003798: 7EC00280
	v_mov_b32_e32 v161, 0                                      // 00000000379C: 7F420280
	v_mov_b32_e32 v97, 0                                       // 0000000037A0: 7EC20280
	v_mov_b32_e32 v162, 0                                      // 0000000037A4: 7F440280
	v_mov_b32_e32 v98, 0                                       // 0000000037A8: 7EC40280
	v_mov_b32_e32 v163, 0                                      // 0000000037AC: 7F460280
	v_mov_b32_e32 v99, 0                                       // 0000000037B0: 7EC60280
	v_mov_b32_e32 v164, 0                                      // 0000000037B4: 7F480280
	v_mov_b32_e32 v100, 0                                      // 0000000037B8: 7EC80280
	v_mov_b32_e32 v165, 0                                      // 0000000037BC: 7F4A0280
	v_mov_b32_e32 v101, 0                                      // 0000000037C0: 7ECA0280
	v_mov_b32_e32 v166, 0                                      // 0000000037C4: 7F4C0280
	v_mov_b32_e32 v102, 0                                      // 0000000037C8: 7ECC0280
	v_mov_b32_e32 v167, 0                                      // 0000000037CC: 7F4E0280
	v_mov_b32_e32 v103, 0                                      // 0000000037D0: 7ECE0280
	v_mov_b32_e32 v168, 0                                      // 0000000037D4: 7F500280
	v_mov_b32_e32 v104, 0                                      // 0000000037D8: 7ED00280
	v_mov_b32_e32 v169, 0                                      // 0000000037DC: 7F520280
	v_mov_b32_e32 v105, 0                                      // 0000000037E0: 7ED20280
	v_mov_b32_e32 v170, 0                                      // 0000000037E4: 7F540280
	v_mov_b32_e32 v106, 0                                      // 0000000037E8: 7ED40280
	v_mov_b32_e32 v171, 0                                      // 0000000037EC: 7F560280
	v_mov_b32_e32 v107, 0                                      // 0000000037F0: 7ED60280
	v_mov_b32_e32 v172, 0                                      // 0000000037F4: 7F580280
	v_mov_b32_e32 v108, 0                                      // 0000000037F8: 7ED80280
	v_mov_b32_e32 v173, 0                                      // 0000000037FC: 7F5A0280
	v_mov_b32_e32 v109, 0                                      // 000000003800: 7EDA0280
	v_mov_b32_e32 v174, 0                                      // 000000003804: 7F5C0280
	v_mov_b32_e32 v110, 0                                      // 000000003808: 7EDC0280
	v_mov_b32_e32 v175, 0                                      // 00000000380C: 7F5E0280
	v_mov_b32_e32 v111, 0                                      // 000000003810: 7EDE0280
	v_mov_b32_e32 v176, 0                                      // 000000003814: 7F600280
	v_mov_b32_e32 v112, 0                                      // 000000003818: 7EE00280
	v_mov_b32_e32 v177, 0                                      // 00000000381C: 7F620280
	v_mov_b32_e32 v113, 0                                      // 000000003820: 7EE20280
	v_mov_b32_e32 v178, 0                                      // 000000003824: 7F640280
	v_mov_b32_e32 v114, 0                                      // 000000003828: 7EE40280
	v_mov_b32_e32 v179, 0                                      // 00000000382C: 7F660280
	v_mov_b32_e32 v115, 0                                      // 000000003830: 7EE60280
	v_mov_b32_e32 v180, 0                                      // 000000003834: 7F680280
	v_mov_b32_e32 v116, 0                                      // 000000003838: 7EE80280
	v_mov_b32_e32 v181, 0                                      // 00000000383C: 7F6A0280
	v_mov_b32_e32 v117, 0                                      // 000000003840: 7EEA0280
	v_mov_b32_e32 v182, 0                                      // 000000003844: 7F6C0280
	v_mov_b32_e32 v118, 0                                      // 000000003848: 7EEC0280
	v_mov_b32_e32 v183, 0                                      // 00000000384C: 7F6E0280
	v_mov_b32_e32 v119, 0                                      // 000000003850: 7EEE0280
	v_lshrrev_b32_e32 v52, 4, v0                               // 000000003854: 20680084
	v_mul_i32_i24_e32 v3, 34, v52                              // 000000003858: 0C0668A2
	v_and_b32_e32 v52, 15, v0                                  // 00000000385C: 2668008F
	v_mul_i32_i24_e32 v53, 2, v52                              // 000000003860: 0C6A6882
	v_add_u32_e32 v3, v53, v3                                  // 000000003864: 68060735
	s_mul_i32 s60, s7, 0x88                                    // 000000003868: 923CFF07 00000088
	v_add_u32_e32 v3, s60, v3                                  // 000000003870: 6806063C
	v_lshlrev_b32_e32 v3, 2, v3                                // 000000003874: 24060682
	v_lshrrev_b32_e32 v52, 1, v0                               // 000000003878: 20680081
	v_mul_i32_i24_e32 v4, 34, v52                              // 00000000387C: 0C0868A2
	v_and_b32_e32 v53, 1, v0                                   // 000000003880: 266A0081
	v_add_u32_e32 v4, v53, v4                                  // 000000003884: 68080935
	s_mul_i32 s60, s7, 2                                       // 000000003888: 923C8207
	v_add_u32_e32 v4, s60, v4                                  // 00000000388C: 6808083C
	v_lshlrev_b32_e32 v4, 2, v4                                // 000000003890: 24080882
	s_waitcnt vmcnt(28)                                        // 000000003894: BF8C4F7C
	s_barrier                                                  // 000000003898: BF8A0000
	ds_read_b128 v[184:187], v2                                // 00000000389C: D9FE0000 B8000002
	ds_read_b128 v[188:191], v2 offset:64                      // 0000000038A4: D9FE0040 BC000002
	ds_read_b128 v[192:195], v2 offset:128                     // 0000000038AC: D9FE0080 C0000002
	ds_read_b128 v[196:199], v2 offset:192                     // 0000000038B4: D9FE00C0 C4000002
	ds_read_b128 v[200:203], v2 offset:1024                    // 0000000038BC: D9FE0400 C8000002
	ds_read_b128 v[204:207], v2 offset:1088                    // 0000000038C4: D9FE0440 CC000002
	ds_read_b128 v[208:211], v2 offset:1152                    // 0000000038CC: D9FE0480 D0000002
	ds_read_b128 v[212:215], v2 offset:1216                    // 0000000038D4: D9FE04C0 D4000002
	s_cmp_lt_i32 s7, 2                                         // 0000000038DC: BF048207
	s_cbranch_scc0 label_152D                                  // 0000000038E0: BF841274

00000000000038e4 <label_02B9>:
	s_waitcnt vmcnt(20) lgkmcnt(0)                             // 0000000038E4: BF8C4074
	s_barrier                                                  // 0000000038E8: BF8A0000
	v_mfma_i32_16x16x32_i8 v[128:131], a[0:1], v[184:185], v[128:131]// 0000000038EC: D3D70080 0E037100
	v_mfma_i32_16x16x32_i8 v[128:131], a[2:3], v[186:187], v[128:131]// 0000000038F4: D3D70080 0E037502
	buffer_load_dwordx4 a[112:115], v34, s[92:95], 0 offen     // 0000000038FC: E05C1000 80977022
	v_mfma_i32_16x16x32_i8 v[128:131], a[4:5], v[188:189], v[128:131]// 000000003904: D3D70080 0E037904
	v_mfma_i32_16x16x32_i8 v[128:131], a[6:7], v[190:191], v[128:131]// 00000000390C: D3D70080 0E037D06
	buffer_load_dword v26, s[20:23], 0 offen lds               // 000000003914: E0511000 8005001A
	s_add_u32 m0, 0x100, s51                                   // 00000000391C: 807C33FF 00000100
	v_mfma_i32_16x16x32_i8 v[128:131], a[8:9], v[192:193], v[128:131]// 000000003924: D3D70080 0E038108
	v_mfma_i32_16x16x32_i8 v[128:131], a[10:11], v[194:195], v[128:131]// 00000000392C: D3D70080 0E03850A
	buffer_load_dwordx4 a[116:119], v34, s[92:95], 0 offen offset:1024// 000000003934: E05C1400 80977422
	v_mfma_i32_16x16x32_i8 v[128:131], a[12:13], v[196:197], v[128:131]// 00000000393C: D3D70080 0E03890C
	v_mfma_i32_16x16x32_i8 v[128:131], a[14:15], v[198:199], v[128:131]// 000000003944: D3D70080 0E038D0E
	buffer_load_dword v27, s[20:23], 0 offen lds               // 00000000394C: E0511000 8005001B
	s_add_u32 m0, 0x200, s51                                   // 000000003954: 807C33FF 00000200
	v_mfma_i32_16x16x32_i8 v[132:135], a[0:1], v[200:201], v[132:135]// 00000000395C: D3D70084 0E139100
	v_mfma_i32_16x16x32_i8 v[132:135], a[2:3], v[202:203], v[132:135]// 000000003964: D3D70084 0E139502
	buffer_load_dwordx4 a[120:123], v34, s[92:95], 0 offen offset:2048// 00000000396C: E05C1800 80977822
	v_mfma_i32_16x16x32_i8 v[132:135], a[4:5], v[204:205], v[132:135]// 000000003974: D3D70084 0E139904
	v_mfma_i32_16x16x32_i8 v[132:135], a[6:7], v[206:207], v[132:135]// 00000000397C: D3D70084 0E139D06
	buffer_load_dword v28, s[20:23], 0 offen lds               // 000000003984: E0511000 8005001C
	s_add_u32 m0, 0x300, s51                                   // 00000000398C: 807C33FF 00000300
	v_mfma_i32_16x16x32_i8 v[132:135], a[8:9], v[208:209], v[132:135]// 000000003994: D3D70084 0E13A108
	v_mfma_i32_16x16x32_i8 v[132:135], a[10:11], v[210:211], v[132:135]// 00000000399C: D3D70084 0E13A50A
	buffer_load_dwordx4 a[124:127], v34, s[92:95], 0 offen offset:3072// 0000000039A4: E05C1C00 80977C22
	v_mfma_i32_16x16x32_i8 v[132:135], a[12:13], v[212:213], v[132:135]// 0000000039AC: D3D70084 0E13A90C
	v_mfma_i32_16x16x32_i8 v[132:135], a[14:15], v[214:215], v[132:135]// 0000000039B4: D3D70084 0E13AD0E
	buffer_load_dword v29, s[20:23], 0 offen lds               // 0000000039BC: E0511000 8005001D
	s_add_u32 m0, 0x400, s51                                   // 0000000039C4: 807C33FF 00000400
	v_mfma_i32_16x16x32_i8 v[136:139], a[16:17], v[184:185], v[136:139]// 0000000039CC: D3D70088 0E237110
	v_mfma_i32_16x16x32_i8 v[136:139], a[18:19], v[186:187], v[136:139]// 0000000039D4: D3D70088 0E237512
	buffer_load_dwordx4 a[128:131], v35, s[92:95], 0 offen     // 0000000039DC: E05C1000 80978023
	v_mfma_i32_16x16x32_i8 v[136:139], a[20:21], v[188:189], v[136:139]// 0000000039E4: D3D70088 0E237914
	v_mfma_i32_16x16x32_i8 v[136:139], a[22:23], v[190:191], v[136:139]// 0000000039EC: D3D70088 0E237D16
	buffer_load_dword v30, s[20:23], 0 offen lds               // 0000000039F4: E0511000 8005001E
	s_add_u32 m0, 0x500, s51                                   // 0000000039FC: 807C33FF 00000500
	v_mfma_i32_16x16x32_i8 v[136:139], a[24:25], v[192:193], v[136:139]// 000000003A04: D3D70088 0E238118
	v_mfma_i32_16x16x32_i8 v[136:139], a[26:27], v[194:195], v[136:139]// 000000003A0C: D3D70088 0E23851A
	buffer_load_dwordx4 a[132:135], v35, s[92:95], 0 offen offset:1024// 000000003A14: E05C1400 80978423
	v_mfma_i32_16x16x32_i8 v[136:139], a[28:29], v[196:197], v[136:139]// 000000003A1C: D3D70088 0E23891C
	v_mfma_i32_16x16x32_i8 v[136:139], a[30:31], v[198:199], v[136:139]// 000000003A24: D3D70088 0E238D1E
	buffer_load_dword v31, s[20:23], 0 offen lds               // 000000003A2C: E0511000 8005001F
	s_add_u32 m0, 0x600, s51                                   // 000000003A34: 807C33FF 00000600
	v_mfma_i32_16x16x32_i8 v[140:143], a[16:17], v[200:201], v[140:143]// 000000003A3C: D3D7008C 0E339110
	v_mfma_i32_16x16x32_i8 v[140:143], a[18:19], v[202:203], v[140:143]// 000000003A44: D3D7008C 0E339512
	buffer_load_dwordx4 a[136:139], v35, s[92:95], 0 offen offset:2048// 000000003A4C: E05C1800 80978823
	v_mfma_i32_16x16x32_i8 v[140:143], a[20:21], v[204:205], v[140:143]// 000000003A54: D3D7008C 0E339914
	v_mfma_i32_16x16x32_i8 v[140:143], a[22:23], v[206:207], v[140:143]// 000000003A5C: D3D7008C 0E339D16
	buffer_load_dword v32, s[20:23], 0 offen lds               // 000000003A64: E0511000 80050020
	s_add_u32 m0, 0x700, s51                                   // 000000003A6C: 807C33FF 00000700
	v_mfma_i32_16x16x32_i8 v[140:143], a[24:25], v[208:209], v[140:143]// 000000003A74: D3D7008C 0E33A118
	v_mfma_i32_16x16x32_i8 v[140:143], a[26:27], v[210:211], v[140:143]// 000000003A7C: D3D7008C 0E33A51A
	buffer_load_dwordx4 a[140:143], v35, s[92:95], 0 offen offset:3072// 000000003A84: E05C1C00 80978C23
	v_mfma_i32_16x16x32_i8 v[140:143], a[28:29], v[212:213], v[140:143]// 000000003A8C: D3D7008C 0E33A91C
	v_mfma_i32_16x16x32_i8 v[140:143], a[30:31], v[214:215], v[140:143]// 000000003A94: D3D7008C 0E33AD1E
	buffer_load_dword v33, s[20:23], 0 offen lds               // 000000003A9C: E0511000 80050021
	s_add_u32 m0, 0, s50                                       // 000000003AA4: 807C3280
	s_waitcnt vmcnt(32)                                        // 000000003AA8: BF8C8F70
	v_mfma_i32_16x16x32_i8 v[144:147], a[32:33], v[184:185], v[144:147]// 000000003AAC: D3D70090 0E437120
	v_mfma_i32_16x16x32_i8 v[144:147], a[34:35], v[186:187], v[144:147]// 000000003AB4: D3D70090 0E437522
	buffer_load_dwordx4 a[144:147], v36, s[92:95], 0 offen     // 000000003ABC: E05C1000 80979024
	v_mfma_i32_16x16x32_i8 v[144:147], a[36:37], v[188:189], v[144:147]// 000000003AC4: D3D70090 0E437924
	v_mfma_i32_16x16x32_i8 v[144:147], a[38:39], v[190:191], v[144:147]// 000000003ACC: D3D70090 0E437D26
	v_mfma_i32_16x16x32_i8 v[144:147], a[40:41], v[192:193], v[144:147]// 000000003AD4: D3D70090 0E438128
	v_mfma_i32_16x16x32_i8 v[144:147], a[42:43], v[194:195], v[144:147]// 000000003ADC: D3D70090 0E43852A
	buffer_load_dwordx4 a[148:151], v36, s[92:95], 0 offen offset:1024// 000000003AE4: E05C1400 80979424
	v_mfma_i32_16x16x32_i8 v[144:147], a[44:45], v[196:197], v[144:147]// 000000003AEC: D3D70090 0E43892C
	v_mfma_i32_16x16x32_i8 v[144:147], a[46:47], v[198:199], v[144:147]// 000000003AF4: D3D70090 0E438D2E
	v_mfma_i32_16x16x32_i8 v[148:151], a[32:33], v[200:201], v[148:151]// 000000003AFC: D3D70094 0E539120
	v_mfma_i32_16x16x32_i8 v[148:151], a[34:35], v[202:203], v[148:151]// 000000003B04: D3D70094 0E539522
	buffer_load_dwordx4 a[152:155], v36, s[92:95], 0 offen offset:2048// 000000003B0C: E05C1800 80979824
	v_mfma_i32_16x16x32_i8 v[148:151], a[36:37], v[204:205], v[148:151]// 000000003B14: D3D70094 0E539924
	v_mfma_i32_16x16x32_i8 v[148:151], a[38:39], v[206:207], v[148:151]// 000000003B1C: D3D70094 0E539D26
	v_mfma_i32_16x16x32_i8 v[148:151], a[40:41], v[208:209], v[148:151]// 000000003B24: D3D70094 0E53A128
	v_mfma_i32_16x16x32_i8 v[148:151], a[42:43], v[210:211], v[148:151]// 000000003B2C: D3D70094 0E53A52A
	buffer_load_dwordx4 a[156:159], v36, s[92:95], 0 offen offset:3072// 000000003B34: E05C1C00 80979C24
	v_mfma_i32_16x16x32_i8 v[148:151], a[44:45], v[212:213], v[148:151]// 000000003B3C: D3D70094 0E53A92C
	v_mfma_i32_16x16x32_i8 v[148:151], a[46:47], v[214:215], v[148:151]// 000000003B44: D3D70094 0E53AD2E
	s_waitcnt vmcnt(32)                                        // 000000003B4C: BF8C8F70
	v_mfma_i32_16x16x32_i8 v[152:155], a[48:49], v[184:185], v[152:155]// 000000003B50: D3D70098 0E637130
	v_mfma_i32_16x16x32_i8 v[152:155], a[50:51], v[186:187], v[152:155]// 000000003B58: D3D70098 0E637532
	buffer_load_dwordx4 a[160:163], v37, s[92:95], 0 offen     // 000000003B60: E05C1000 8097A025
	v_mfma_i32_16x16x32_i8 v[152:155], a[52:53], v[188:189], v[152:155]// 000000003B68: D3D70098 0E637934
	v_mfma_i32_16x16x32_i8 v[152:155], a[54:55], v[190:191], v[152:155]// 000000003B70: D3D70098 0E637D36
	v_mfma_i32_16x16x32_i8 v[152:155], a[56:57], v[192:193], v[152:155]// 000000003B78: D3D70098 0E638138
	v_mfma_i32_16x16x32_i8 v[152:155], a[58:59], v[194:195], v[152:155]// 000000003B80: D3D70098 0E63853A
	buffer_load_dwordx4 a[164:167], v37, s[92:95], 0 offen offset:1024// 000000003B88: E05C1400 8097A425
	v_mfma_i32_16x16x32_i8 v[152:155], a[60:61], v[196:197], v[152:155]// 000000003B90: D3D70098 0E63893C
	v_mfma_i32_16x16x32_i8 v[152:155], a[62:63], v[198:199], v[152:155]// 000000003B98: D3D70098 0E638D3E
	v_mfma_i32_16x16x32_i8 v[156:159], a[48:49], v[200:201], v[156:159]// 000000003BA0: D3D7009C 0E739130
	v_mfma_i32_16x16x32_i8 v[156:159], a[50:51], v[202:203], v[156:159]// 000000003BA8: D3D7009C 0E739532
	buffer_load_dwordx4 a[168:171], v37, s[92:95], 0 offen offset:2048// 000000003BB0: E05C1800 8097A825
	v_mfma_i32_16x16x32_i8 v[156:159], a[52:53], v[204:205], v[156:159]// 000000003BB8: D3D7009C 0E739934
	v_mfma_i32_16x16x32_i8 v[156:159], a[54:55], v[206:207], v[156:159]// 000000003BC0: D3D7009C 0E739D36
	v_mfma_i32_16x16x32_i8 v[156:159], a[56:57], v[208:209], v[156:159]// 000000003BC8: D3D7009C 0E73A138
	v_mfma_i32_16x16x32_i8 v[156:159], a[58:59], v[210:211], v[156:159]// 000000003BD0: D3D7009C 0E73A53A
	buffer_load_dwordx4 a[172:175], v37, s[92:95], 0 offen offset:3072// 000000003BD8: E05C1C00 8097AC25
	v_mfma_i32_16x16x32_i8 v[156:159], a[60:61], v[212:213], v[156:159]// 000000003BE0: D3D7009C 0E73A93C
	v_mfma_i32_16x16x32_i8 v[156:159], a[62:63], v[214:215], v[156:159]// 000000003BE8: D3D7009C 0E73AD3E
	s_waitcnt vmcnt(32)                                        // 000000003BF0: BF8C8F70
	v_mfma_i32_16x16x32_i8 v[160:163], a[64:65], v[184:185], v[160:163]// 000000003BF4: D3D700A0 0E837140
	v_mfma_i32_16x16x32_i8 v[160:163], a[66:67], v[186:187], v[160:163]// 000000003BFC: D3D700A0 0E837542
	buffer_load_dwordx4 a[176:179], v38, s[92:95], 0 offen     // 000000003C04: E05C1000 8097B026
	v_mfma_i32_16x16x32_i8 v[160:163], a[68:69], v[188:189], v[160:163]// 000000003C0C: D3D700A0 0E837944
	v_mfma_i32_16x16x32_i8 v[160:163], a[70:71], v[190:191], v[160:163]// 000000003C14: D3D700A0 0E837D46
	v_mfma_i32_16x16x32_i8 v[160:163], a[72:73], v[192:193], v[160:163]// 000000003C1C: D3D700A0 0E838148
	v_mfma_i32_16x16x32_i8 v[160:163], a[74:75], v[194:195], v[160:163]// 000000003C24: D3D700A0 0E83854A
	buffer_load_dwordx4 a[180:183], v38, s[92:95], 0 offen offset:1024// 000000003C2C: E05C1400 8097B426
	v_mfma_i32_16x16x32_i8 v[160:163], a[76:77], v[196:197], v[160:163]// 000000003C34: D3D700A0 0E83894C
	v_mfma_i32_16x16x32_i8 v[160:163], a[78:79], v[198:199], v[160:163]// 000000003C3C: D3D700A0 0E838D4E
	v_mfma_i32_16x16x32_i8 v[164:167], a[64:65], v[200:201], v[164:167]// 000000003C44: D3D700A4 0E939140
	v_mfma_i32_16x16x32_i8 v[164:167], a[66:67], v[202:203], v[164:167]// 000000003C4C: D3D700A4 0E939542
	buffer_load_dwordx4 a[184:187], v38, s[92:95], 0 offen offset:2048// 000000003C54: E05C1800 8097B826
	v_mfma_i32_16x16x32_i8 v[164:167], a[68:69], v[204:205], v[164:167]// 000000003C5C: D3D700A4 0E939944
	v_mfma_i32_16x16x32_i8 v[164:167], a[70:71], v[206:207], v[164:167]// 000000003C64: D3D700A4 0E939D46
	v_mfma_i32_16x16x32_i8 v[164:167], a[72:73], v[208:209], v[164:167]// 000000003C6C: D3D700A4 0E93A148
	v_mfma_i32_16x16x32_i8 v[164:167], a[74:75], v[210:211], v[164:167]// 000000003C74: D3D700A4 0E93A54A
	buffer_load_dwordx4 a[188:191], v38, s[92:95], 0 offen offset:3072// 000000003C7C: E05C1C00 8097BC26
	v_mfma_i32_16x16x32_i8 v[164:167], a[76:77], v[212:213], v[164:167]// 000000003C84: D3D700A4 0E93A94C
	v_mfma_i32_16x16x32_i8 v[164:167], a[78:79], v[214:215], v[164:167]// 000000003C8C: D3D700A4 0E93AD4E
	s_waitcnt vmcnt(32)                                        // 000000003C94: BF8C8F70
	v_mfma_i32_16x16x32_i8 v[168:171], a[80:81], v[184:185], v[168:171]// 000000003C98: D3D700A8 0EA37150
	v_mfma_i32_16x16x32_i8 v[168:171], a[82:83], v[186:187], v[168:171]// 000000003CA0: D3D700A8 0EA37552
	buffer_load_dwordx4 a[192:195], v39, s[92:95], 0 offen     // 000000003CA8: E05C1000 8097C027
	v_mfma_i32_16x16x32_i8 v[168:171], a[84:85], v[188:189], v[168:171]// 000000003CB0: D3D700A8 0EA37954
	v_mfma_i32_16x16x32_i8 v[168:171], a[86:87], v[190:191], v[168:171]// 000000003CB8: D3D700A8 0EA37D56
	v_mfma_i32_16x16x32_i8 v[168:171], a[88:89], v[192:193], v[168:171]// 000000003CC0: D3D700A8 0EA38158
	v_mfma_i32_16x16x32_i8 v[168:171], a[90:91], v[194:195], v[168:171]// 000000003CC8: D3D700A8 0EA3855A
	buffer_load_dwordx4 a[196:199], v39, s[92:95], 0 offen offset:1024// 000000003CD0: E05C1400 8097C427
	v_mfma_i32_16x16x32_i8 v[168:171], a[92:93], v[196:197], v[168:171]// 000000003CD8: D3D700A8 0EA3895C
	v_mfma_i32_16x16x32_i8 v[168:171], a[94:95], v[198:199], v[168:171]// 000000003CE0: D3D700A8 0EA38D5E
	v_mfma_i32_16x16x32_i8 v[172:175], a[80:81], v[200:201], v[172:175]// 000000003CE8: D3D700AC 0EB39150
	v_mfma_i32_16x16x32_i8 v[172:175], a[82:83], v[202:203], v[172:175]// 000000003CF0: D3D700AC 0EB39552
	buffer_load_dwordx4 a[200:203], v39, s[92:95], 0 offen offset:2048// 000000003CF8: E05C1800 8097C827
	v_mfma_i32_16x16x32_i8 v[172:175], a[84:85], v[204:205], v[172:175]// 000000003D00: D3D700AC 0EB39954
	v_mfma_i32_16x16x32_i8 v[172:175], a[86:87], v[206:207], v[172:175]// 000000003D08: D3D700AC 0EB39D56
	v_mfma_i32_16x16x32_i8 v[172:175], a[88:89], v[208:209], v[172:175]// 000000003D10: D3D700AC 0EB3A158
	v_mfma_i32_16x16x32_i8 v[172:175], a[90:91], v[210:211], v[172:175]// 000000003D18: D3D700AC 0EB3A55A
	buffer_load_dwordx4 a[204:207], v39, s[92:95], 0 offen offset:3072// 000000003D20: E05C1C00 8097CC27
	v_mfma_i32_16x16x32_i8 v[172:175], a[92:93], v[212:213], v[172:175]// 000000003D28: D3D700AC 0EB3A95C
	v_mfma_i32_16x16x32_i8 v[172:175], a[94:95], v[214:215], v[172:175]// 000000003D30: D3D700AC 0EB3AD5E
	s_waitcnt vmcnt(32)                                        // 000000003D38: BF8C8F70
	v_mfma_i32_16x16x32_i8 v[176:179], a[96:97], v[184:185], v[176:179]// 000000003D3C: D3D700B0 0EC37160
	v_mfma_i32_16x16x32_i8 v[176:179], a[98:99], v[186:187], v[176:179]// 000000003D44: D3D700B0 0EC37562
	buffer_load_dwordx4 a[208:211], v40, s[92:95], 0 offen     // 000000003D4C: E05C1000 8097D028
	v_mfma_i32_16x16x32_i8 v[176:179], a[100:101], v[188:189], v[176:179]// 000000003D54: D3D700B0 0EC37964
	v_mfma_i32_16x16x32_i8 v[176:179], a[102:103], v[190:191], v[176:179]// 000000003D5C: D3D700B0 0EC37D66
	v_mfma_i32_16x16x32_i8 v[176:179], a[104:105], v[192:193], v[176:179]// 000000003D64: D3D700B0 0EC38168
	v_mfma_i32_16x16x32_i8 v[176:179], a[106:107], v[194:195], v[176:179]// 000000003D6C: D3D700B0 0EC3856A
	buffer_load_dwordx4 a[212:215], v40, s[92:95], 0 offen offset:1024// 000000003D74: E05C1400 8097D428
	v_mfma_i32_16x16x32_i8 v[176:179], a[108:109], v[196:197], v[176:179]// 000000003D7C: D3D700B0 0EC3896C
	v_mfma_i32_16x16x32_i8 v[176:179], a[110:111], v[198:199], v[176:179]// 000000003D84: D3D700B0 0EC38D6E
	v_mfma_i32_16x16x32_i8 v[180:183], a[96:97], v[200:201], v[180:183]// 000000003D8C: D3D700B4 0ED39160
	v_mfma_i32_16x16x32_i8 v[180:183], a[98:99], v[202:203], v[180:183]// 000000003D94: D3D700B4 0ED39562
	buffer_load_dwordx4 a[216:219], v40, s[92:95], 0 offen offset:2048// 000000003D9C: E05C1800 8097D828
	v_mfma_i32_16x16x32_i8 v[180:183], a[100:101], v[204:205], v[180:183]// 000000003DA4: D3D700B4 0ED39964
	v_mfma_i32_16x16x32_i8 v[180:183], a[102:103], v[206:207], v[180:183]// 000000003DAC: D3D700B4 0ED39D66
	v_mfma_i32_16x16x32_i8 v[180:183], a[104:105], v[208:209], v[180:183]// 000000003DB4: D3D700B4 0ED3A168
	v_mfma_i32_16x16x32_i8 v[180:183], a[106:107], v[210:211], v[180:183]// 000000003DBC: D3D700B4 0ED3A56A
	buffer_load_dwordx4 a[220:223], v40, s[92:95], 0 offen offset:3072// 000000003DC4: E05C1C00 8097DC28
	v_mfma_i32_16x16x32_i8 v[180:183], a[108:109], v[212:213], v[180:183]// 000000003DCC: D3D700B4 0ED3A96C
	v_mfma_i32_16x16x32_i8 v[180:183], a[110:111], v[214:215], v[180:183]// 000000003DD4: D3D700B4 0ED3AD6E
	s_waitcnt vmcnt(20)                                        // 000000003DDC: BF8C4F74
	s_barrier                                                  // 000000003DE0: BF8A0000
	v_mfma_i32_16x16x32_i8 v[64:67], a[112:113], v[184:185], v[64:67]// 000000003DE4: D3D70040 0D037170
	v_mfma_i32_16x16x32_i8 v[64:67], a[114:115], v[186:187], v[64:67]// 000000003DEC: D3D70040 0D037572
	buffer_load_dwordx4 a[0:3], v34, s[24:27], 0 offen         // 000000003DF4: E05C1000 80860022
	v_mfma_i32_16x16x32_i8 v[64:67], a[116:117], v[188:189], v[64:67]// 000000003DFC: D3D70040 0D037974
	v_mfma_i32_16x16x32_i8 v[64:67], a[118:119], v[190:191], v[64:67]// 000000003E04: D3D70040 0D037D76
	v_mfma_i32_16x16x32_i8 v[64:67], a[120:121], v[192:193], v[64:67]// 000000003E0C: D3D70040 0D038178
	v_mfma_i32_16x16x32_i8 v[64:67], a[122:123], v[194:195], v[64:67]// 000000003E14: D3D70040 0D03857A
	buffer_load_dwordx4 a[4:7], v34, s[24:27], 0 offen offset:1024// 000000003E1C: E05C1400 80860422
	v_mfma_i32_16x16x32_i8 v[64:67], a[124:125], v[196:197], v[64:67]// 000000003E24: D3D70040 0D03897C
	v_mfma_i32_16x16x32_i8 v[64:67], a[126:127], v[198:199], v[64:67]// 000000003E2C: D3D70040 0D038D7E
	v_mfma_i32_16x16x32_i8 v[68:71], a[112:113], v[200:201], v[68:71]// 000000003E34: D3D70044 0D139170
	v_mfma_i32_16x16x32_i8 v[68:71], a[114:115], v[202:203], v[68:71]// 000000003E3C: D3D70044 0D139572
	buffer_load_dwordx4 a[8:11], v34, s[24:27], 0 offen offset:2048// 000000003E44: E05C1800 80860822
	v_mfma_i32_16x16x32_i8 v[68:71], a[116:117], v[204:205], v[68:71]// 000000003E4C: D3D70044 0D139974
	v_mfma_i32_16x16x32_i8 v[68:71], a[118:119], v[206:207], v[68:71]// 000000003E54: D3D70044 0D139D76
	v_mfma_i32_16x16x32_i8 v[68:71], a[120:121], v[208:209], v[68:71]// 000000003E5C: D3D70044 0D13A178
	v_mfma_i32_16x16x32_i8 v[68:71], a[122:123], v[210:211], v[68:71]// 000000003E64: D3D70044 0D13A57A
	buffer_load_dwordx4 a[12:15], v34, s[24:27], 0 offen offset:3072// 000000003E6C: E05C1C00 80860C22
	v_mfma_i32_16x16x32_i8 v[68:71], a[124:125], v[212:213], v[68:71]// 000000003E74: D3D70044 0D13A97C
	v_mfma_i32_16x16x32_i8 v[68:71], a[126:127], v[214:215], v[68:71]// 000000003E7C: D3D70044 0D13AD7E
	v_mfma_i32_16x16x32_i8 v[72:75], a[128:129], v[184:185], v[72:75]// 000000003E84: D3D70048 0D237180
	v_mfma_i32_16x16x32_i8 v[72:75], a[130:131], v[186:187], v[72:75]// 000000003E8C: D3D70048 0D237582
	buffer_load_dwordx4 a[16:19], v35, s[24:27], 0 offen       // 000000003E94: E05C1000 80861023
	v_mfma_i32_16x16x32_i8 v[72:75], a[132:133], v[188:189], v[72:75]// 000000003E9C: D3D70048 0D237984
	v_mfma_i32_16x16x32_i8 v[72:75], a[134:135], v[190:191], v[72:75]// 000000003EA4: D3D70048 0D237D86
	v_mfma_i32_16x16x32_i8 v[72:75], a[136:137], v[192:193], v[72:75]// 000000003EAC: D3D70048 0D238188
	v_mfma_i32_16x16x32_i8 v[72:75], a[138:139], v[194:195], v[72:75]// 000000003EB4: D3D70048 0D23858A
	buffer_load_dwordx4 a[20:23], v35, s[24:27], 0 offen offset:1024// 000000003EBC: E05C1400 80861423
	v_mfma_i32_16x16x32_i8 v[72:75], a[140:141], v[196:197], v[72:75]// 000000003EC4: D3D70048 0D23898C
	v_mfma_i32_16x16x32_i8 v[72:75], a[142:143], v[198:199], v[72:75]// 000000003ECC: D3D70048 0D238D8E
	v_mfma_i32_16x16x32_i8 v[76:79], a[128:129], v[200:201], v[76:79]// 000000003ED4: D3D7004C 0D339180
	v_mfma_i32_16x16x32_i8 v[76:79], a[130:131], v[202:203], v[76:79]// 000000003EDC: D3D7004C 0D339582
	buffer_load_dwordx4 a[24:27], v35, s[24:27], 0 offen offset:2048// 000000003EE4: E05C1800 80861823
	v_mfma_i32_16x16x32_i8 v[76:79], a[132:133], v[204:205], v[76:79]// 000000003EEC: D3D7004C 0D339984
	v_mfma_i32_16x16x32_i8 v[76:79], a[134:135], v[206:207], v[76:79]// 000000003EF4: D3D7004C 0D339D86
	v_mfma_i32_16x16x32_i8 v[76:79], a[136:137], v[208:209], v[76:79]// 000000003EFC: D3D7004C 0D33A188
	v_mfma_i32_16x16x32_i8 v[76:79], a[138:139], v[210:211], v[76:79]// 000000003F04: D3D7004C 0D33A58A
	buffer_load_dwordx4 a[28:31], v35, s[24:27], 0 offen offset:3072// 000000003F0C: E05C1C00 80861C23
	v_mfma_i32_16x16x32_i8 v[76:79], a[140:141], v[212:213], v[76:79]// 000000003F14: D3D7004C 0D33A98C
	v_mfma_i32_16x16x32_i8 v[76:79], a[142:143], v[214:215], v[76:79]// 000000003F1C: D3D7004C 0D33AD8E
	s_waitcnt vmcnt(24)                                        // 000000003F24: BF8C4F78
	v_mfma_i32_16x16x32_i8 v[80:83], a[144:145], v[184:185], v[80:83]// 000000003F28: D3D70050 0D437190
	v_mfma_i32_16x16x32_i8 v[80:83], a[146:147], v[186:187], v[80:83]// 000000003F30: D3D70050 0D437592
	buffer_load_dwordx4 a[32:35], v36, s[24:27], 0 offen       // 000000003F38: E05C1000 80862024
	v_mfma_i32_16x16x32_i8 v[80:83], a[148:149], v[188:189], v[80:83]// 000000003F40: D3D70050 0D437994
	v_mfma_i32_16x16x32_i8 v[80:83], a[150:151], v[190:191], v[80:83]// 000000003F48: D3D70050 0D437D96
	ds_read_b128 v[216:219], v2 offset:8320                    // 000000003F50: D9FE2080 D8000002
	v_mfma_i32_16x16x32_i8 v[80:83], a[152:153], v[192:193], v[80:83]// 000000003F58: D3D70050 0D438198
	v_mfma_i32_16x16x32_i8 v[80:83], a[154:155], v[194:195], v[80:83]// 000000003F60: D3D70050 0D43859A
	buffer_load_dwordx4 a[36:39], v36, s[24:27], 0 offen offset:1024// 000000003F68: E05C1400 80862424
	v_mfma_i32_16x16x32_i8 v[80:83], a[156:157], v[196:197], v[80:83]// 000000003F70: D3D70050 0D43899C
	v_mfma_i32_16x16x32_i8 v[80:83], a[158:159], v[198:199], v[80:83]// 000000003F78: D3D70050 0D438D9E
	ds_read_b128 v[220:223], v2 offset:8384                    // 000000003F80: D9FE20C0 DC000002
	v_mfma_i32_16x16x32_i8 v[84:87], a[144:145], v[200:201], v[84:87]// 000000003F88: D3D70054 0D539190
	v_mfma_i32_16x16x32_i8 v[84:87], a[146:147], v[202:203], v[84:87]// 000000003F90: D3D70054 0D539592
	buffer_load_dwordx4 a[40:43], v36, s[24:27], 0 offen offset:2048// 000000003F98: E05C1800 80862824
	v_mfma_i32_16x16x32_i8 v[84:87], a[148:149], v[204:205], v[84:87]// 000000003FA0: D3D70054 0D539994
	v_mfma_i32_16x16x32_i8 v[84:87], a[150:151], v[206:207], v[84:87]// 000000003FA8: D3D70054 0D539D96
	ds_read_b128 v[224:227], v2 offset:8448                    // 000000003FB0: D9FE2100 E0000002
	v_mfma_i32_16x16x32_i8 v[84:87], a[152:153], v[208:209], v[84:87]// 000000003FB8: D3D70054 0D53A198
	v_mfma_i32_16x16x32_i8 v[84:87], a[154:155], v[210:211], v[84:87]// 000000003FC0: D3D70054 0D53A59A
	buffer_load_dwordx4 a[44:47], v36, s[24:27], 0 offen offset:3072// 000000003FC8: E05C1C00 80862C24
	v_mfma_i32_16x16x32_i8 v[84:87], a[156:157], v[212:213], v[84:87]// 000000003FD0: D3D70054 0D53A99C
	v_mfma_i32_16x16x32_i8 v[84:87], a[158:159], v[214:215], v[84:87]// 000000003FD8: D3D70054 0D53AD9E
	ds_read_b128 v[228:231], v2 offset:8512                    // 000000003FE0: D9FE2140 E4000002
	s_waitcnt vmcnt(24)                                        // 000000003FE8: BF8C4F78
	v_mfma_i32_16x16x32_i8 v[88:91], a[160:161], v[184:185], v[88:91]// 000000003FEC: D3D70058 0D6371A0
	v_mfma_i32_16x16x32_i8 v[88:91], a[162:163], v[186:187], v[88:91]// 000000003FF4: D3D70058 0D6375A2
	buffer_load_dwordx4 a[48:51], v37, s[24:27], 0 offen       // 000000003FFC: E05C1000 80863025
	v_mfma_i32_16x16x32_i8 v[88:91], a[164:165], v[188:189], v[88:91]// 000000004004: D3D70058 0D6379A4
	v_mfma_i32_16x16x32_i8 v[88:91], a[166:167], v[190:191], v[88:91]// 00000000400C: D3D70058 0D637DA6
	ds_read_b128 v[232:235], v2 offset:9344                    // 000000004014: D9FE2480 E8000002
	v_mfma_i32_16x16x32_i8 v[88:91], a[168:169], v[192:193], v[88:91]// 00000000401C: D3D70058 0D6381A8
	v_mfma_i32_16x16x32_i8 v[88:91], a[170:171], v[194:195], v[88:91]// 000000004024: D3D70058 0D6385AA
	buffer_load_dwordx4 a[52:55], v37, s[24:27], 0 offen offset:1024// 00000000402C: E05C1400 80863425
	v_mfma_i32_16x16x32_i8 v[88:91], a[172:173], v[196:197], v[88:91]// 000000004034: D3D70058 0D6389AC
	v_mfma_i32_16x16x32_i8 v[88:91], a[174:175], v[198:199], v[88:91]// 00000000403C: D3D70058 0D638DAE
	ds_read_b128 v[236:239], v2 offset:9408                    // 000000004044: D9FE24C0 EC000002
	v_mfma_i32_16x16x32_i8 v[92:95], a[160:161], v[200:201], v[92:95]// 00000000404C: D3D7005C 0D7391A0
	v_mfma_i32_16x16x32_i8 v[92:95], a[162:163], v[202:203], v[92:95]// 000000004054: D3D7005C 0D7395A2
	buffer_load_dwordx4 a[56:59], v37, s[24:27], 0 offen offset:2048// 00000000405C: E05C1800 80863825
	v_mfma_i32_16x16x32_i8 v[92:95], a[164:165], v[204:205], v[92:95]// 000000004064: D3D7005C 0D7399A4
	v_mfma_i32_16x16x32_i8 v[92:95], a[166:167], v[206:207], v[92:95]// 00000000406C: D3D7005C 0D739DA6
	ds_read_b128 v[240:243], v2 offset:9472                    // 000000004074: D9FE2500 F0000002
	v_mfma_i32_16x16x32_i8 v[92:95], a[168:169], v[208:209], v[92:95]// 00000000407C: D3D7005C 0D73A1A8
	v_mfma_i32_16x16x32_i8 v[92:95], a[170:171], v[210:211], v[92:95]// 000000004084: D3D7005C 0D73A5AA
	buffer_load_dwordx4 a[60:63], v37, s[24:27], 0 offen offset:3072// 00000000408C: E05C1C00 80863C25
	v_mfma_i32_16x16x32_i8 v[92:95], a[172:173], v[212:213], v[92:95]// 000000004094: D3D7005C 0D73A9AC
	v_mfma_i32_16x16x32_i8 v[92:95], a[174:175], v[214:215], v[92:95]// 00000000409C: D3D7005C 0D73ADAE
	ds_read_b128 v[244:247], v2 offset:9536                    // 0000000040A4: D9FE2540 F4000002
	s_waitcnt vmcnt(24)                                        // 0000000040AC: BF8C4F78
	v_mfma_i32_16x16x32_i8 v[96:99], a[176:177], v[184:185], v[96:99]// 0000000040B0: D3D70060 0D8371B0
	v_mfma_i32_16x16x32_i8 v[96:99], a[178:179], v[186:187], v[96:99]// 0000000040B8: D3D70060 0D8375B2
	buffer_load_dwordx4 a[64:67], v38, s[24:27], 0 offen       // 0000000040C0: E05C1000 80864026
	v_mfma_i32_16x16x32_i8 v[96:99], a[180:181], v[188:189], v[96:99]// 0000000040C8: D3D70060 0D8379B4
	v_mfma_i32_16x16x32_i8 v[96:99], a[182:183], v[190:191], v[96:99]// 0000000040D0: D3D70060 0D837DB6
	v_mfma_i32_16x16x32_i8 v[96:99], a[184:185], v[192:193], v[96:99]// 0000000040D8: D3D70060 0D8381B8
	v_mfma_i32_16x16x32_i8 v[96:99], a[186:187], v[194:195], v[96:99]// 0000000040E0: D3D70060 0D8385BA
	buffer_load_dwordx4 a[68:71], v38, s[24:27], 0 offen offset:1024// 0000000040E8: E05C1400 80864426
	v_mfma_i32_16x16x32_i8 v[96:99], a[188:189], v[196:197], v[96:99]// 0000000040F0: D3D70060 0D8389BC
	v_mfma_i32_16x16x32_i8 v[96:99], a[190:191], v[198:199], v[96:99]// 0000000040F8: D3D70060 0D838DBE
	v_mfma_i32_16x16x32_i8 v[100:103], a[176:177], v[200:201], v[100:103]// 000000004100: D3D70064 0D9391B0
	v_mfma_i32_16x16x32_i8 v[100:103], a[178:179], v[202:203], v[100:103]// 000000004108: D3D70064 0D9395B2
	buffer_load_dwordx4 a[72:75], v38, s[24:27], 0 offen offset:2048// 000000004110: E05C1800 80864826
	v_mfma_i32_16x16x32_i8 v[100:103], a[180:181], v[204:205], v[100:103]// 000000004118: D3D70064 0D9399B4
	v_mfma_i32_16x16x32_i8 v[100:103], a[182:183], v[206:207], v[100:103]// 000000004120: D3D70064 0D939DB6
	v_mfma_i32_16x16x32_i8 v[100:103], a[184:185], v[208:209], v[100:103]// 000000004128: D3D70064 0D93A1B8
	v_mfma_i32_16x16x32_i8 v[100:103], a[186:187], v[210:211], v[100:103]// 000000004130: D3D70064 0D93A5BA
	buffer_load_dwordx4 a[76:79], v38, s[24:27], 0 offen offset:3072// 000000004138: E05C1C00 80864C26
	v_mfma_i32_16x16x32_i8 v[100:103], a[188:189], v[212:213], v[100:103]// 000000004140: D3D70064 0D93A9BC
	v_mfma_i32_16x16x32_i8 v[100:103], a[190:191], v[214:215], v[100:103]// 000000004148: D3D70064 0D93ADBE
	s_waitcnt vmcnt(24)                                        // 000000004150: BF8C4F78
	v_mfma_i32_16x16x32_i8 v[104:107], a[192:193], v[184:185], v[104:107]// 000000004154: D3D70068 0DA371C0
	v_mfma_i32_16x16x32_i8 v[104:107], a[194:195], v[186:187], v[104:107]// 00000000415C: D3D70068 0DA375C2
	buffer_load_dwordx4 a[80:83], v39, s[24:27], 0 offen       // 000000004164: E05C1000 80865027
	v_mfma_i32_16x16x32_i8 v[104:107], a[196:197], v[188:189], v[104:107]// 00000000416C: D3D70068 0DA379C4
	v_mfma_i32_16x16x32_i8 v[104:107], a[198:199], v[190:191], v[104:107]// 000000004174: D3D70068 0DA37DC6
	v_mfma_i32_16x16x32_i8 v[104:107], a[200:201], v[192:193], v[104:107]// 00000000417C: D3D70068 0DA381C8
	v_mfma_i32_16x16x32_i8 v[104:107], a[202:203], v[194:195], v[104:107]// 000000004184: D3D70068 0DA385CA
	buffer_load_dwordx4 a[84:87], v39, s[24:27], 0 offen offset:1024// 00000000418C: E05C1400 80865427
	v_mfma_i32_16x16x32_i8 v[104:107], a[204:205], v[196:197], v[104:107]// 000000004194: D3D70068 0DA389CC
	v_mfma_i32_16x16x32_i8 v[104:107], a[206:207], v[198:199], v[104:107]// 00000000419C: D3D70068 0DA38DCE
	v_mfma_i32_16x16x32_i8 v[108:111], a[192:193], v[200:201], v[108:111]// 0000000041A4: D3D7006C 0DB391C0
	v_mfma_i32_16x16x32_i8 v[108:111], a[194:195], v[202:203], v[108:111]// 0000000041AC: D3D7006C 0DB395C2
	buffer_load_dwordx4 a[88:91], v39, s[24:27], 0 offen offset:2048// 0000000041B4: E05C1800 80865827
	v_mfma_i32_16x16x32_i8 v[108:111], a[196:197], v[204:205], v[108:111]// 0000000041BC: D3D7006C 0DB399C4
	v_mfma_i32_16x16x32_i8 v[108:111], a[198:199], v[206:207], v[108:111]// 0000000041C4: D3D7006C 0DB39DC6
	v_mfma_i32_16x16x32_i8 v[108:111], a[200:201], v[208:209], v[108:111]// 0000000041CC: D3D7006C 0DB3A1C8
	v_mfma_i32_16x16x32_i8 v[108:111], a[202:203], v[210:211], v[108:111]// 0000000041D4: D3D7006C 0DB3A5CA
	buffer_load_dwordx4 a[92:95], v39, s[24:27], 0 offen offset:3072// 0000000041DC: E05C1C00 80865C27
	v_mfma_i32_16x16x32_i8 v[108:111], a[204:205], v[212:213], v[108:111]// 0000000041E4: D3D7006C 0DB3A9CC
	v_mfma_i32_16x16x32_i8 v[108:111], a[206:207], v[214:215], v[108:111]// 0000000041EC: D3D7006C 0DB3ADCE
	s_waitcnt vmcnt(24)                                        // 0000000041F4: BF8C4F78
	v_mfma_i32_16x16x32_i8 v[112:115], a[208:209], v[184:185], v[112:115]// 0000000041F8: D3D70070 0DC371D0
	v_mfma_i32_16x16x32_i8 v[112:115], a[210:211], v[186:187], v[112:115]// 000000004200: D3D70070 0DC375D2
	buffer_load_dwordx4 a[96:99], v40, s[24:27], 0 offen       // 000000004208: E05C1000 80866028
	v_mfma_i32_16x16x32_i8 v[112:115], a[212:213], v[188:189], v[112:115]// 000000004210: D3D70070 0DC379D4
	v_mfma_i32_16x16x32_i8 v[112:115], a[214:215], v[190:191], v[112:115]// 000000004218: D3D70070 0DC37DD6
	v_mfma_i32_16x16x32_i8 v[112:115], a[216:217], v[192:193], v[112:115]// 000000004220: D3D70070 0DC381D8
	v_mfma_i32_16x16x32_i8 v[112:115], a[218:219], v[194:195], v[112:115]// 000000004228: D3D70070 0DC385DA
	buffer_load_dwordx4 a[100:103], v40, s[24:27], 0 offen offset:1024// 000000004230: E05C1400 80866428
	v_mfma_i32_16x16x32_i8 v[112:115], a[220:221], v[196:197], v[112:115]// 000000004238: D3D70070 0DC389DC
	v_mfma_i32_16x16x32_i8 v[112:115], a[222:223], v[198:199], v[112:115]// 000000004240: D3D70070 0DC38DDE
	v_mfma_i32_16x16x32_i8 v[116:119], a[208:209], v[200:201], v[116:119]// 000000004248: D3D70074 0DD391D0
	v_mfma_i32_16x16x32_i8 v[116:119], a[210:211], v[202:203], v[116:119]// 000000004250: D3D70074 0DD395D2
	buffer_load_dwordx4 a[104:107], v40, s[24:27], 0 offen offset:2048// 000000004258: E05C1800 80866828
	v_mfma_i32_16x16x32_i8 v[116:119], a[212:213], v[204:205], v[116:119]// 000000004260: D3D70074 0DD399D4
	v_mfma_i32_16x16x32_i8 v[116:119], a[214:215], v[206:207], v[116:119]// 000000004268: D3D70074 0DD39DD6
	v_mfma_i32_16x16x32_i8 v[116:119], a[216:217], v[208:209], v[116:119]// 000000004270: D3D70074 0DD3A1D8
	v_mfma_i32_16x16x32_i8 v[116:119], a[218:219], v[210:211], v[116:119]// 000000004278: D3D70074 0DD3A5DA
	buffer_load_dwordx4 a[108:111], v40, s[24:27], 0 offen offset:3072// 000000004280: E05C1C00 80866C28
	v_mfma_i32_16x16x32_i8 v[116:119], a[220:221], v[212:213], v[116:119]// 000000004288: D3D70074 0DD3A9DC
	v_mfma_i32_16x16x32_i8 v[116:119], a[222:223], v[214:215], v[116:119]// 000000004290: D3D70074 0DD3ADDE
	s_add_u32 s60, 0x200, s80                                  // 000000004298: 803C50FF 00000200
	s_cmp_lt_u32 s60, s81                                      // 0000000042A0: BF0A513C
	s_cselect_b32 s57, s57, 0                                  // 0000000042A4: 85398039
	s_add_u32 s60, 0x200, s80                                  // 0000000042A8: 803C50FF 00000200
	s_cmp_lt_u32 s60, s81                                      // 0000000042B0: BF0A513C
	s_cselect_b32 s58, s58, 0                                  // 0000000042B4: 853A803A
	s_add_u32 s20, s57, s20                                    // 0000000042B8: 80141439
	s_addc_u32 s21, 0, s21                                     // 0000000042BC: 82151580
	s_add_u32 s24, s58, s24                                    // 0000000042C0: 8018183A
	s_addc_u32 s25, 0, s25                                     // 0000000042C4: 82191980
	s_add_u32 s92, s90, s92                                    // 0000000042C8: 805C5C5A
	s_addc_u32 s93, 0, s93                                     // 0000000042CC: 825D5D80
	s_addk_i32 s80, 0x100                                      // 0000000042D0: B7500100
	s_cmp_lt_i32 s80, s81                                      // 0000000042D4: BF045150
	s_cbranch_scc0 label_07B6                                  // 0000000042D8: BF84027F
	s_waitcnt vmcnt(20) lgkmcnt(0)                             // 0000000042DC: BF8C4074
	s_barrier                                                  // 0000000042E0: BF8A0000
	v_mfma_i32_16x16x32_i8 v[128:131], a[0:1], v[216:217], v[128:131]// 0000000042E4: D3D70080 0E03B100
	v_mfma_i32_16x16x32_i8 v[128:131], a[2:3], v[218:219], v[128:131]// 0000000042EC: D3D70080 0E03B502
	buffer_load_dwordx4 a[112:115], v34, s[92:95], 0 offen     // 0000000042F4: E05C1000 80977022
	v_mfma_i32_16x16x32_i8 v[128:131], a[4:5], v[220:221], v[128:131]// 0000000042FC: D3D70080 0E03B904
	v_mfma_i32_16x16x32_i8 v[128:131], a[6:7], v[222:223], v[128:131]// 000000004304: D3D70080 0E03BD06
	buffer_load_dword v26, s[20:23], 0 offen lds               // 00000000430C: E0511000 8005001A
	s_add_u32 m0, 0x100, s50                                   // 000000004314: 807C32FF 00000100
	v_mfma_i32_16x16x32_i8 v[128:131], a[8:9], v[224:225], v[128:131]// 00000000431C: D3D70080 0E03C108
	v_mfma_i32_16x16x32_i8 v[128:131], a[10:11], v[226:227], v[128:131]// 000000004324: D3D70080 0E03C50A
	buffer_load_dwordx4 a[116:119], v34, s[92:95], 0 offen offset:1024// 00000000432C: E05C1400 80977422
	v_mfma_i32_16x16x32_i8 v[128:131], a[12:13], v[228:229], v[128:131]// 000000004334: D3D70080 0E03C90C
	v_mfma_i32_16x16x32_i8 v[128:131], a[14:15], v[230:231], v[128:131]// 00000000433C: D3D70080 0E03CD0E
	buffer_load_dword v27, s[20:23], 0 offen lds               // 000000004344: E0511000 8005001B
	s_add_u32 m0, 0x200, s50                                   // 00000000434C: 807C32FF 00000200
	v_mfma_i32_16x16x32_i8 v[132:135], a[0:1], v[232:233], v[132:135]// 000000004354: D3D70084 0E13D100
	v_mfma_i32_16x16x32_i8 v[132:135], a[2:3], v[234:235], v[132:135]// 00000000435C: D3D70084 0E13D502
	buffer_load_dwordx4 a[120:123], v34, s[92:95], 0 offen offset:2048// 000000004364: E05C1800 80977822
	v_mfma_i32_16x16x32_i8 v[132:135], a[4:5], v[236:237], v[132:135]// 00000000436C: D3D70084 0E13D904
	v_mfma_i32_16x16x32_i8 v[132:135], a[6:7], v[238:239], v[132:135]// 000000004374: D3D70084 0E13DD06
	buffer_load_dword v28, s[20:23], 0 offen lds               // 00000000437C: E0511000 8005001C
	s_add_u32 m0, 0x300, s50                                   // 000000004384: 807C32FF 00000300
	v_mfma_i32_16x16x32_i8 v[132:135], a[8:9], v[240:241], v[132:135]// 00000000438C: D3D70084 0E13E108
	v_mfma_i32_16x16x32_i8 v[132:135], a[10:11], v[242:243], v[132:135]// 000000004394: D3D70084 0E13E50A
	buffer_load_dwordx4 a[124:127], v34, s[92:95], 0 offen offset:3072// 00000000439C: E05C1C00 80977C22
	v_mfma_i32_16x16x32_i8 v[132:135], a[12:13], v[244:245], v[132:135]// 0000000043A4: D3D70084 0E13E90C
	v_mfma_i32_16x16x32_i8 v[132:135], a[14:15], v[246:247], v[132:135]// 0000000043AC: D3D70084 0E13ED0E
	buffer_load_dword v29, s[20:23], 0 offen lds               // 0000000043B4: E0511000 8005001D
	s_add_u32 m0, 0x400, s50                                   // 0000000043BC: 807C32FF 00000400
	v_mfma_i32_16x16x32_i8 v[136:139], a[16:17], v[216:217], v[136:139]// 0000000043C4: D3D70088 0E23B110
	v_mfma_i32_16x16x32_i8 v[136:139], a[18:19], v[218:219], v[136:139]// 0000000043CC: D3D70088 0E23B512
	buffer_load_dwordx4 a[128:131], v35, s[92:95], 0 offen     // 0000000043D4: E05C1000 80978023
	v_mfma_i32_16x16x32_i8 v[136:139], a[20:21], v[220:221], v[136:139]// 0000000043DC: D3D70088 0E23B914
	v_mfma_i32_16x16x32_i8 v[136:139], a[22:23], v[222:223], v[136:139]// 0000000043E4: D3D70088 0E23BD16
	buffer_load_dword v30, s[20:23], 0 offen lds               // 0000000043EC: E0511000 8005001E
	s_add_u32 m0, 0x500, s50                                   // 0000000043F4: 807C32FF 00000500
	v_mfma_i32_16x16x32_i8 v[136:139], a[24:25], v[224:225], v[136:139]// 0000000043FC: D3D70088 0E23C118
	v_mfma_i32_16x16x32_i8 v[136:139], a[26:27], v[226:227], v[136:139]// 000000004404: D3D70088 0E23C51A
	buffer_load_dwordx4 a[132:135], v35, s[92:95], 0 offen offset:1024// 00000000440C: E05C1400 80978423
	v_mfma_i32_16x16x32_i8 v[136:139], a[28:29], v[228:229], v[136:139]// 000000004414: D3D70088 0E23C91C
	v_mfma_i32_16x16x32_i8 v[136:139], a[30:31], v[230:231], v[136:139]// 00000000441C: D3D70088 0E23CD1E
	buffer_load_dword v31, s[20:23], 0 offen lds               // 000000004424: E0511000 8005001F
	s_add_u32 m0, 0x600, s50                                   // 00000000442C: 807C32FF 00000600
	v_mfma_i32_16x16x32_i8 v[140:143], a[16:17], v[232:233], v[140:143]// 000000004434: D3D7008C 0E33D110
	v_mfma_i32_16x16x32_i8 v[140:143], a[18:19], v[234:235], v[140:143]// 00000000443C: D3D7008C 0E33D512
	buffer_load_dwordx4 a[136:139], v35, s[92:95], 0 offen offset:2048// 000000004444: E05C1800 80978823
	v_mfma_i32_16x16x32_i8 v[140:143], a[20:21], v[236:237], v[140:143]// 00000000444C: D3D7008C 0E33D914
	v_mfma_i32_16x16x32_i8 v[140:143], a[22:23], v[238:239], v[140:143]// 000000004454: D3D7008C 0E33DD16
	buffer_load_dword v32, s[20:23], 0 offen lds               // 00000000445C: E0511000 80050020
	s_add_u32 m0, 0x700, s50                                   // 000000004464: 807C32FF 00000700
	v_mfma_i32_16x16x32_i8 v[140:143], a[24:25], v[240:241], v[140:143]// 00000000446C: D3D7008C 0E33E118
	v_mfma_i32_16x16x32_i8 v[140:143], a[26:27], v[242:243], v[140:143]// 000000004474: D3D7008C 0E33E51A
	buffer_load_dwordx4 a[140:143], v35, s[92:95], 0 offen offset:3072// 00000000447C: E05C1C00 80978C23
	v_mfma_i32_16x16x32_i8 v[140:143], a[28:29], v[244:245], v[140:143]// 000000004484: D3D7008C 0E33E91C
	v_mfma_i32_16x16x32_i8 v[140:143], a[30:31], v[246:247], v[140:143]// 00000000448C: D3D7008C 0E33ED1E
	buffer_load_dword v33, s[20:23], 0 offen lds               // 000000004494: E0511000 80050021
	s_add_u32 m0, 0, s51                                       // 00000000449C: 807C3380
	s_waitcnt vmcnt(32)                                        // 0000000044A0: BF8C8F70
	v_mfma_i32_16x16x32_i8 v[144:147], a[32:33], v[216:217], v[144:147]// 0000000044A4: D3D70090 0E43B120
	v_mfma_i32_16x16x32_i8 v[144:147], a[34:35], v[218:219], v[144:147]// 0000000044AC: D3D70090 0E43B522
	buffer_load_dwordx4 a[144:147], v36, s[92:95], 0 offen     // 0000000044B4: E05C1000 80979024
	v_mfma_i32_16x16x32_i8 v[144:147], a[36:37], v[220:221], v[144:147]// 0000000044BC: D3D70090 0E43B924
	v_mfma_i32_16x16x32_i8 v[144:147], a[38:39], v[222:223], v[144:147]// 0000000044C4: D3D70090 0E43BD26
	v_mfma_i32_16x16x32_i8 v[144:147], a[40:41], v[224:225], v[144:147]// 0000000044CC: D3D70090 0E43C128
	v_mfma_i32_16x16x32_i8 v[144:147], a[42:43], v[226:227], v[144:147]// 0000000044D4: D3D70090 0E43C52A
	buffer_load_dwordx4 a[148:151], v36, s[92:95], 0 offen offset:1024// 0000000044DC: E05C1400 80979424
	v_mfma_i32_16x16x32_i8 v[144:147], a[44:45], v[228:229], v[144:147]// 0000000044E4: D3D70090 0E43C92C
	v_mfma_i32_16x16x32_i8 v[144:147], a[46:47], v[230:231], v[144:147]// 0000000044EC: D3D70090 0E43CD2E
	v_mfma_i32_16x16x32_i8 v[148:151], a[32:33], v[232:233], v[148:151]// 0000000044F4: D3D70094 0E53D120
	v_mfma_i32_16x16x32_i8 v[148:151], a[34:35], v[234:235], v[148:151]// 0000000044FC: D3D70094 0E53D522
	buffer_load_dwordx4 a[152:155], v36, s[92:95], 0 offen offset:2048// 000000004504: E05C1800 80979824
	v_mfma_i32_16x16x32_i8 v[148:151], a[36:37], v[236:237], v[148:151]// 00000000450C: D3D70094 0E53D924
	v_mfma_i32_16x16x32_i8 v[148:151], a[38:39], v[238:239], v[148:151]// 000000004514: D3D70094 0E53DD26
	v_mfma_i32_16x16x32_i8 v[148:151], a[40:41], v[240:241], v[148:151]// 00000000451C: D3D70094 0E53E128
	v_mfma_i32_16x16x32_i8 v[148:151], a[42:43], v[242:243], v[148:151]// 000000004524: D3D70094 0E53E52A
	buffer_load_dwordx4 a[156:159], v36, s[92:95], 0 offen offset:3072// 00000000452C: E05C1C00 80979C24
	v_mfma_i32_16x16x32_i8 v[148:151], a[44:45], v[244:245], v[148:151]// 000000004534: D3D70094 0E53E92C
	v_mfma_i32_16x16x32_i8 v[148:151], a[46:47], v[246:247], v[148:151]// 00000000453C: D3D70094 0E53ED2E
	s_waitcnt vmcnt(32)                                        // 000000004544: BF8C8F70
	v_mfma_i32_16x16x32_i8 v[152:155], a[48:49], v[216:217], v[152:155]// 000000004548: D3D70098 0E63B130
	v_mfma_i32_16x16x32_i8 v[152:155], a[50:51], v[218:219], v[152:155]// 000000004550: D3D70098 0E63B532
	buffer_load_dwordx4 a[160:163], v37, s[92:95], 0 offen     // 000000004558: E05C1000 8097A025
	v_mfma_i32_16x16x32_i8 v[152:155], a[52:53], v[220:221], v[152:155]// 000000004560: D3D70098 0E63B934
	v_mfma_i32_16x16x32_i8 v[152:155], a[54:55], v[222:223], v[152:155]// 000000004568: D3D70098 0E63BD36
	v_mfma_i32_16x16x32_i8 v[152:155], a[56:57], v[224:225], v[152:155]// 000000004570: D3D70098 0E63C138
	v_mfma_i32_16x16x32_i8 v[152:155], a[58:59], v[226:227], v[152:155]// 000000004578: D3D70098 0E63C53A
	buffer_load_dwordx4 a[164:167], v37, s[92:95], 0 offen offset:1024// 000000004580: E05C1400 8097A425
	v_mfma_i32_16x16x32_i8 v[152:155], a[60:61], v[228:229], v[152:155]// 000000004588: D3D70098 0E63C93C
	v_mfma_i32_16x16x32_i8 v[152:155], a[62:63], v[230:231], v[152:155]// 000000004590: D3D70098 0E63CD3E
	v_mfma_i32_16x16x32_i8 v[156:159], a[48:49], v[232:233], v[156:159]// 000000004598: D3D7009C 0E73D130
	v_mfma_i32_16x16x32_i8 v[156:159], a[50:51], v[234:235], v[156:159]// 0000000045A0: D3D7009C 0E73D532
	buffer_load_dwordx4 a[168:171], v37, s[92:95], 0 offen offset:2048// 0000000045A8: E05C1800 8097A825
	v_mfma_i32_16x16x32_i8 v[156:159], a[52:53], v[236:237], v[156:159]// 0000000045B0: D3D7009C 0E73D934
	v_mfma_i32_16x16x32_i8 v[156:159], a[54:55], v[238:239], v[156:159]// 0000000045B8: D3D7009C 0E73DD36
	v_mfma_i32_16x16x32_i8 v[156:159], a[56:57], v[240:241], v[156:159]// 0000000045C0: D3D7009C 0E73E138
	v_mfma_i32_16x16x32_i8 v[156:159], a[58:59], v[242:243], v[156:159]// 0000000045C8: D3D7009C 0E73E53A
	buffer_load_dwordx4 a[172:175], v37, s[92:95], 0 offen offset:3072// 0000000045D0: E05C1C00 8097AC25
	v_mfma_i32_16x16x32_i8 v[156:159], a[60:61], v[244:245], v[156:159]// 0000000045D8: D3D7009C 0E73E93C
	v_mfma_i32_16x16x32_i8 v[156:159], a[62:63], v[246:247], v[156:159]// 0000000045E0: D3D7009C 0E73ED3E
	s_waitcnt vmcnt(32)                                        // 0000000045E8: BF8C8F70
	v_mfma_i32_16x16x32_i8 v[160:163], a[64:65], v[216:217], v[160:163]// 0000000045EC: D3D700A0 0E83B140
	v_mfma_i32_16x16x32_i8 v[160:163], a[66:67], v[218:219], v[160:163]// 0000000045F4: D3D700A0 0E83B542
	buffer_load_dwordx4 a[176:179], v38, s[92:95], 0 offen     // 0000000045FC: E05C1000 8097B026
	v_mfma_i32_16x16x32_i8 v[160:163], a[68:69], v[220:221], v[160:163]// 000000004604: D3D700A0 0E83B944
	v_mfma_i32_16x16x32_i8 v[160:163], a[70:71], v[222:223], v[160:163]// 00000000460C: D3D700A0 0E83BD46
	v_mfma_i32_16x16x32_i8 v[160:163], a[72:73], v[224:225], v[160:163]// 000000004614: D3D700A0 0E83C148
	v_mfma_i32_16x16x32_i8 v[160:163], a[74:75], v[226:227], v[160:163]// 00000000461C: D3D700A0 0E83C54A
	buffer_load_dwordx4 a[180:183], v38, s[92:95], 0 offen offset:1024// 000000004624: E05C1400 8097B426
	v_mfma_i32_16x16x32_i8 v[160:163], a[76:77], v[228:229], v[160:163]// 00000000462C: D3D700A0 0E83C94C
	v_mfma_i32_16x16x32_i8 v[160:163], a[78:79], v[230:231], v[160:163]// 000000004634: D3D700A0 0E83CD4E
	v_mfma_i32_16x16x32_i8 v[164:167], a[64:65], v[232:233], v[164:167]// 00000000463C: D3D700A4 0E93D140
	v_mfma_i32_16x16x32_i8 v[164:167], a[66:67], v[234:235], v[164:167]// 000000004644: D3D700A4 0E93D542
	buffer_load_dwordx4 a[184:187], v38, s[92:95], 0 offen offset:2048// 00000000464C: E05C1800 8097B826
	v_mfma_i32_16x16x32_i8 v[164:167], a[68:69], v[236:237], v[164:167]// 000000004654: D3D700A4 0E93D944
	v_mfma_i32_16x16x32_i8 v[164:167], a[70:71], v[238:239], v[164:167]// 00000000465C: D3D700A4 0E93DD46
	v_mfma_i32_16x16x32_i8 v[164:167], a[72:73], v[240:241], v[164:167]// 000000004664: D3D700A4 0E93E148
	v_mfma_i32_16x16x32_i8 v[164:167], a[74:75], v[242:243], v[164:167]// 00000000466C: D3D700A4 0E93E54A
	buffer_load_dwordx4 a[188:191], v38, s[92:95], 0 offen offset:3072// 000000004674: E05C1C00 8097BC26
	v_mfma_i32_16x16x32_i8 v[164:167], a[76:77], v[244:245], v[164:167]// 00000000467C: D3D700A4 0E93E94C
	v_mfma_i32_16x16x32_i8 v[164:167], a[78:79], v[246:247], v[164:167]// 000000004684: D3D700A4 0E93ED4E
	s_waitcnt vmcnt(32)                                        // 00000000468C: BF8C8F70
	v_mfma_i32_16x16x32_i8 v[168:171], a[80:81], v[216:217], v[168:171]// 000000004690: D3D700A8 0EA3B150
	v_mfma_i32_16x16x32_i8 v[168:171], a[82:83], v[218:219], v[168:171]// 000000004698: D3D700A8 0EA3B552
	buffer_load_dwordx4 a[192:195], v39, s[92:95], 0 offen     // 0000000046A0: E05C1000 8097C027
	v_mfma_i32_16x16x32_i8 v[168:171], a[84:85], v[220:221], v[168:171]// 0000000046A8: D3D700A8 0EA3B954
	v_mfma_i32_16x16x32_i8 v[168:171], a[86:87], v[222:223], v[168:171]// 0000000046B0: D3D700A8 0EA3BD56
	v_mfma_i32_16x16x32_i8 v[168:171], a[88:89], v[224:225], v[168:171]// 0000000046B8: D3D700A8 0EA3C158
	v_mfma_i32_16x16x32_i8 v[168:171], a[90:91], v[226:227], v[168:171]// 0000000046C0: D3D700A8 0EA3C55A
	buffer_load_dwordx4 a[196:199], v39, s[92:95], 0 offen offset:1024// 0000000046C8: E05C1400 8097C427
	v_mfma_i32_16x16x32_i8 v[168:171], a[92:93], v[228:229], v[168:171]// 0000000046D0: D3D700A8 0EA3C95C
	v_mfma_i32_16x16x32_i8 v[168:171], a[94:95], v[230:231], v[168:171]// 0000000046D8: D3D700A8 0EA3CD5E
	v_mfma_i32_16x16x32_i8 v[172:175], a[80:81], v[232:233], v[172:175]// 0000000046E0: D3D700AC 0EB3D150
	v_mfma_i32_16x16x32_i8 v[172:175], a[82:83], v[234:235], v[172:175]// 0000000046E8: D3D700AC 0EB3D552
	buffer_load_dwordx4 a[200:203], v39, s[92:95], 0 offen offset:2048// 0000000046F0: E05C1800 8097C827
	v_mfma_i32_16x16x32_i8 v[172:175], a[84:85], v[236:237], v[172:175]// 0000000046F8: D3D700AC 0EB3D954
	v_mfma_i32_16x16x32_i8 v[172:175], a[86:87], v[238:239], v[172:175]// 000000004700: D3D700AC 0EB3DD56
	v_mfma_i32_16x16x32_i8 v[172:175], a[88:89], v[240:241], v[172:175]// 000000004708: D3D700AC 0EB3E158
	v_mfma_i32_16x16x32_i8 v[172:175], a[90:91], v[242:243], v[172:175]// 000000004710: D3D700AC 0EB3E55A
	buffer_load_dwordx4 a[204:207], v39, s[92:95], 0 offen offset:3072// 000000004718: E05C1C00 8097CC27
	v_mfma_i32_16x16x32_i8 v[172:175], a[92:93], v[244:245], v[172:175]// 000000004720: D3D700AC 0EB3E95C
	v_mfma_i32_16x16x32_i8 v[172:175], a[94:95], v[246:247], v[172:175]// 000000004728: D3D700AC 0EB3ED5E
	s_waitcnt vmcnt(32)                                        // 000000004730: BF8C8F70
	v_mfma_i32_16x16x32_i8 v[176:179], a[96:97], v[216:217], v[176:179]// 000000004734: D3D700B0 0EC3B160
	v_mfma_i32_16x16x32_i8 v[176:179], a[98:99], v[218:219], v[176:179]// 00000000473C: D3D700B0 0EC3B562
	buffer_load_dwordx4 a[208:211], v40, s[92:95], 0 offen     // 000000004744: E05C1000 8097D028
	v_mfma_i32_16x16x32_i8 v[176:179], a[100:101], v[220:221], v[176:179]// 00000000474C: D3D700B0 0EC3B964
	v_mfma_i32_16x16x32_i8 v[176:179], a[102:103], v[222:223], v[176:179]// 000000004754: D3D700B0 0EC3BD66
	v_mfma_i32_16x16x32_i8 v[176:179], a[104:105], v[224:225], v[176:179]// 00000000475C: D3D700B0 0EC3C168
	v_mfma_i32_16x16x32_i8 v[176:179], a[106:107], v[226:227], v[176:179]// 000000004764: D3D700B0 0EC3C56A
	buffer_load_dwordx4 a[212:215], v40, s[92:95], 0 offen offset:1024// 00000000476C: E05C1400 8097D428
	v_mfma_i32_16x16x32_i8 v[176:179], a[108:109], v[228:229], v[176:179]// 000000004774: D3D700B0 0EC3C96C
	v_mfma_i32_16x16x32_i8 v[176:179], a[110:111], v[230:231], v[176:179]// 00000000477C: D3D700B0 0EC3CD6E
	v_mfma_i32_16x16x32_i8 v[180:183], a[96:97], v[232:233], v[180:183]// 000000004784: D3D700B4 0ED3D160
	v_mfma_i32_16x16x32_i8 v[180:183], a[98:99], v[234:235], v[180:183]// 00000000478C: D3D700B4 0ED3D562
	buffer_load_dwordx4 a[216:219], v40, s[92:95], 0 offen offset:2048// 000000004794: E05C1800 8097D828
	v_mfma_i32_16x16x32_i8 v[180:183], a[100:101], v[236:237], v[180:183]// 00000000479C: D3D700B4 0ED3D964
	v_mfma_i32_16x16x32_i8 v[180:183], a[102:103], v[238:239], v[180:183]// 0000000047A4: D3D700B4 0ED3DD66
	v_mfma_i32_16x16x32_i8 v[180:183], a[104:105], v[240:241], v[180:183]// 0000000047AC: D3D700B4 0ED3E168
	v_mfma_i32_16x16x32_i8 v[180:183], a[106:107], v[242:243], v[180:183]// 0000000047B4: D3D700B4 0ED3E56A
	buffer_load_dwordx4 a[220:223], v40, s[92:95], 0 offen offset:3072// 0000000047BC: E05C1C00 8097DC28
	v_mfma_i32_16x16x32_i8 v[180:183], a[108:109], v[244:245], v[180:183]// 0000000047C4: D3D700B4 0ED3E96C
	v_mfma_i32_16x16x32_i8 v[180:183], a[110:111], v[246:247], v[180:183]// 0000000047CC: D3D700B4 0ED3ED6E
	s_waitcnt vmcnt(20)                                        // 0000000047D4: BF8C4F74
	s_barrier                                                  // 0000000047D8: BF8A0000
	v_mfma_i32_16x16x32_i8 v[64:67], a[112:113], v[216:217], v[64:67]// 0000000047DC: D3D70040 0D03B170
	v_mfma_i32_16x16x32_i8 v[64:67], a[114:115], v[218:219], v[64:67]// 0000000047E4: D3D70040 0D03B572
	buffer_load_dwordx4 a[0:3], v34, s[24:27], 0 offen         // 0000000047EC: E05C1000 80860022
	v_mfma_i32_16x16x32_i8 v[64:67], a[116:117], v[220:221], v[64:67]// 0000000047F4: D3D70040 0D03B974
	v_mfma_i32_16x16x32_i8 v[64:67], a[118:119], v[222:223], v[64:67]// 0000000047FC: D3D70040 0D03BD76
	v_mfma_i32_16x16x32_i8 v[64:67], a[120:121], v[224:225], v[64:67]// 000000004804: D3D70040 0D03C178
	v_mfma_i32_16x16x32_i8 v[64:67], a[122:123], v[226:227], v[64:67]// 00000000480C: D3D70040 0D03C57A
	buffer_load_dwordx4 a[4:7], v34, s[24:27], 0 offen offset:1024// 000000004814: E05C1400 80860422
	v_mfma_i32_16x16x32_i8 v[64:67], a[124:125], v[228:229], v[64:67]// 00000000481C: D3D70040 0D03C97C
	v_mfma_i32_16x16x32_i8 v[64:67], a[126:127], v[230:231], v[64:67]// 000000004824: D3D70040 0D03CD7E
	v_mfma_i32_16x16x32_i8 v[68:71], a[112:113], v[232:233], v[68:71]// 00000000482C: D3D70044 0D13D170
	v_mfma_i32_16x16x32_i8 v[68:71], a[114:115], v[234:235], v[68:71]// 000000004834: D3D70044 0D13D572
	buffer_load_dwordx4 a[8:11], v34, s[24:27], 0 offen offset:2048// 00000000483C: E05C1800 80860822
	v_mfma_i32_16x16x32_i8 v[68:71], a[116:117], v[236:237], v[68:71]// 000000004844: D3D70044 0D13D974
	v_mfma_i32_16x16x32_i8 v[68:71], a[118:119], v[238:239], v[68:71]// 00000000484C: D3D70044 0D13DD76
	v_mfma_i32_16x16x32_i8 v[68:71], a[120:121], v[240:241], v[68:71]// 000000004854: D3D70044 0D13E178
	v_mfma_i32_16x16x32_i8 v[68:71], a[122:123], v[242:243], v[68:71]// 00000000485C: D3D70044 0D13E57A
	buffer_load_dwordx4 a[12:15], v34, s[24:27], 0 offen offset:3072// 000000004864: E05C1C00 80860C22
	v_mfma_i32_16x16x32_i8 v[68:71], a[124:125], v[244:245], v[68:71]// 00000000486C: D3D70044 0D13E97C
	v_mfma_i32_16x16x32_i8 v[68:71], a[126:127], v[246:247], v[68:71]// 000000004874: D3D70044 0D13ED7E
	v_mfma_i32_16x16x32_i8 v[72:75], a[128:129], v[216:217], v[72:75]// 00000000487C: D3D70048 0D23B180
	v_mfma_i32_16x16x32_i8 v[72:75], a[130:131], v[218:219], v[72:75]// 000000004884: D3D70048 0D23B582
	buffer_load_dwordx4 a[16:19], v35, s[24:27], 0 offen       // 00000000488C: E05C1000 80861023
	v_mfma_i32_16x16x32_i8 v[72:75], a[132:133], v[220:221], v[72:75]// 000000004894: D3D70048 0D23B984
	v_mfma_i32_16x16x32_i8 v[72:75], a[134:135], v[222:223], v[72:75]// 00000000489C: D3D70048 0D23BD86
	v_mfma_i32_16x16x32_i8 v[72:75], a[136:137], v[224:225], v[72:75]// 0000000048A4: D3D70048 0D23C188
	v_mfma_i32_16x16x32_i8 v[72:75], a[138:139], v[226:227], v[72:75]// 0000000048AC: D3D70048 0D23C58A
	buffer_load_dwordx4 a[20:23], v35, s[24:27], 0 offen offset:1024// 0000000048B4: E05C1400 80861423
	v_mfma_i32_16x16x32_i8 v[72:75], a[140:141], v[228:229], v[72:75]// 0000000048BC: D3D70048 0D23C98C
	v_mfma_i32_16x16x32_i8 v[72:75], a[142:143], v[230:231], v[72:75]// 0000000048C4: D3D70048 0D23CD8E
	v_mfma_i32_16x16x32_i8 v[76:79], a[128:129], v[232:233], v[76:79]// 0000000048CC: D3D7004C 0D33D180
	v_mfma_i32_16x16x32_i8 v[76:79], a[130:131], v[234:235], v[76:79]// 0000000048D4: D3D7004C 0D33D582
	buffer_load_dwordx4 a[24:27], v35, s[24:27], 0 offen offset:2048// 0000000048DC: E05C1800 80861823
	v_mfma_i32_16x16x32_i8 v[76:79], a[132:133], v[236:237], v[76:79]// 0000000048E4: D3D7004C 0D33D984
	v_mfma_i32_16x16x32_i8 v[76:79], a[134:135], v[238:239], v[76:79]// 0000000048EC: D3D7004C 0D33DD86
	v_mfma_i32_16x16x32_i8 v[76:79], a[136:137], v[240:241], v[76:79]// 0000000048F4: D3D7004C 0D33E188
	v_mfma_i32_16x16x32_i8 v[76:79], a[138:139], v[242:243], v[76:79]// 0000000048FC: D3D7004C 0D33E58A
	buffer_load_dwordx4 a[28:31], v35, s[24:27], 0 offen offset:3072// 000000004904: E05C1C00 80861C23
	v_mfma_i32_16x16x32_i8 v[76:79], a[140:141], v[244:245], v[76:79]// 00000000490C: D3D7004C 0D33E98C
	v_mfma_i32_16x16x32_i8 v[76:79], a[142:143], v[246:247], v[76:79]// 000000004914: D3D7004C 0D33ED8E
	s_waitcnt vmcnt(24)                                        // 00000000491C: BF8C4F78
	v_mfma_i32_16x16x32_i8 v[80:83], a[144:145], v[216:217], v[80:83]// 000000004920: D3D70050 0D43B190
	v_mfma_i32_16x16x32_i8 v[80:83], a[146:147], v[218:219], v[80:83]// 000000004928: D3D70050 0D43B592
	buffer_load_dwordx4 a[32:35], v36, s[24:27], 0 offen       // 000000004930: E05C1000 80862024
	v_mfma_i32_16x16x32_i8 v[80:83], a[148:149], v[220:221], v[80:83]// 000000004938: D3D70050 0D43B994
	v_mfma_i32_16x16x32_i8 v[80:83], a[150:151], v[222:223], v[80:83]// 000000004940: D3D70050 0D43BD96
	ds_read_b128 v[184:187], v2                                // 000000004948: D9FE0000 B8000002
	v_mfma_i32_16x16x32_i8 v[80:83], a[152:153], v[224:225], v[80:83]// 000000004950: D3D70050 0D43C198
	v_mfma_i32_16x16x32_i8 v[80:83], a[154:155], v[226:227], v[80:83]// 000000004958: D3D70050 0D43C59A
	buffer_load_dwordx4 a[36:39], v36, s[24:27], 0 offen offset:1024// 000000004960: E05C1400 80862424
	v_mfma_i32_16x16x32_i8 v[80:83], a[156:157], v[228:229], v[80:83]// 000000004968: D3D70050 0D43C99C
	v_mfma_i32_16x16x32_i8 v[80:83], a[158:159], v[230:231], v[80:83]// 000000004970: D3D70050 0D43CD9E
	ds_read_b128 v[188:191], v2 offset:64                      // 000000004978: D9FE0040 BC000002
	v_mfma_i32_16x16x32_i8 v[84:87], a[144:145], v[232:233], v[84:87]// 000000004980: D3D70054 0D53D190
	v_mfma_i32_16x16x32_i8 v[84:87], a[146:147], v[234:235], v[84:87]// 000000004988: D3D70054 0D53D592
	buffer_load_dwordx4 a[40:43], v36, s[24:27], 0 offen offset:2048// 000000004990: E05C1800 80862824
	v_mfma_i32_16x16x32_i8 v[84:87], a[148:149], v[236:237], v[84:87]// 000000004998: D3D70054 0D53D994
	v_mfma_i32_16x16x32_i8 v[84:87], a[150:151], v[238:239], v[84:87]// 0000000049A0: D3D70054 0D53DD96
	ds_read_b128 v[192:195], v2 offset:128                     // 0000000049A8: D9FE0080 C0000002
	v_mfma_i32_16x16x32_i8 v[84:87], a[152:153], v[240:241], v[84:87]// 0000000049B0: D3D70054 0D53E198
	v_mfma_i32_16x16x32_i8 v[84:87], a[154:155], v[242:243], v[84:87]// 0000000049B8: D3D70054 0D53E59A
	buffer_load_dwordx4 a[44:47], v36, s[24:27], 0 offen offset:3072// 0000000049C0: E05C1C00 80862C24
	v_mfma_i32_16x16x32_i8 v[84:87], a[156:157], v[244:245], v[84:87]// 0000000049C8: D3D70054 0D53E99C
	v_mfma_i32_16x16x32_i8 v[84:87], a[158:159], v[246:247], v[84:87]// 0000000049D0: D3D70054 0D53ED9E
	ds_read_b128 v[196:199], v2 offset:192                     // 0000000049D8: D9FE00C0 C4000002
	s_waitcnt vmcnt(24)                                        // 0000000049E0: BF8C4F78
	v_mfma_i32_16x16x32_i8 v[88:91], a[160:161], v[216:217], v[88:91]// 0000000049E4: D3D70058 0D63B1A0
	v_mfma_i32_16x16x32_i8 v[88:91], a[162:163], v[218:219], v[88:91]// 0000000049EC: D3D70058 0D63B5A2
	buffer_load_dwordx4 a[48:51], v37, s[24:27], 0 offen       // 0000000049F4: E05C1000 80863025
	v_mfma_i32_16x16x32_i8 v[88:91], a[164:165], v[220:221], v[88:91]// 0000000049FC: D3D70058 0D63B9A4
	v_mfma_i32_16x16x32_i8 v[88:91], a[166:167], v[222:223], v[88:91]// 000000004A04: D3D70058 0D63BDA6
	ds_read_b128 v[200:203], v2 offset:1024                    // 000000004A0C: D9FE0400 C8000002
	v_mfma_i32_16x16x32_i8 v[88:91], a[168:169], v[224:225], v[88:91]// 000000004A14: D3D70058 0D63C1A8
	v_mfma_i32_16x16x32_i8 v[88:91], a[170:171], v[226:227], v[88:91]// 000000004A1C: D3D70058 0D63C5AA
	buffer_load_dwordx4 a[52:55], v37, s[24:27], 0 offen offset:1024// 000000004A24: E05C1400 80863425
	v_mfma_i32_16x16x32_i8 v[88:91], a[172:173], v[228:229], v[88:91]// 000000004A2C: D3D70058 0D63C9AC
	v_mfma_i32_16x16x32_i8 v[88:91], a[174:175], v[230:231], v[88:91]// 000000004A34: D3D70058 0D63CDAE
	ds_read_b128 v[204:207], v2 offset:1088                    // 000000004A3C: D9FE0440 CC000002
	v_mfma_i32_16x16x32_i8 v[92:95], a[160:161], v[232:233], v[92:95]// 000000004A44: D3D7005C 0D73D1A0
	v_mfma_i32_16x16x32_i8 v[92:95], a[162:163], v[234:235], v[92:95]// 000000004A4C: D3D7005C 0D73D5A2
	buffer_load_dwordx4 a[56:59], v37, s[24:27], 0 offen offset:2048// 000000004A54: E05C1800 80863825
	v_mfma_i32_16x16x32_i8 v[92:95], a[164:165], v[236:237], v[92:95]// 000000004A5C: D3D7005C 0D73D9A4
	v_mfma_i32_16x16x32_i8 v[92:95], a[166:167], v[238:239], v[92:95]// 000000004A64: D3D7005C 0D73DDA6
	ds_read_b128 v[208:211], v2 offset:1152                    // 000000004A6C: D9FE0480 D0000002
	v_mfma_i32_16x16x32_i8 v[92:95], a[168:169], v[240:241], v[92:95]// 000000004A74: D3D7005C 0D73E1A8
	v_mfma_i32_16x16x32_i8 v[92:95], a[170:171], v[242:243], v[92:95]// 000000004A7C: D3D7005C 0D73E5AA
	buffer_load_dwordx4 a[60:63], v37, s[24:27], 0 offen offset:3072// 000000004A84: E05C1C00 80863C25
	v_mfma_i32_16x16x32_i8 v[92:95], a[172:173], v[244:245], v[92:95]// 000000004A8C: D3D7005C 0D73E9AC
	v_mfma_i32_16x16x32_i8 v[92:95], a[174:175], v[246:247], v[92:95]// 000000004A94: D3D7005C 0D73EDAE
	ds_read_b128 v[212:215], v2 offset:1216                    // 000000004A9C: D9FE04C0 D4000002
	s_waitcnt vmcnt(24)                                        // 000000004AA4: BF8C4F78
	v_mfma_i32_16x16x32_i8 v[96:99], a[176:177], v[216:217], v[96:99]// 000000004AA8: D3D70060 0D83B1B0
	v_mfma_i32_16x16x32_i8 v[96:99], a[178:179], v[218:219], v[96:99]// 000000004AB0: D3D70060 0D83B5B2
	buffer_load_dwordx4 a[64:67], v38, s[24:27], 0 offen       // 000000004AB8: E05C1000 80864026
	v_mfma_i32_16x16x32_i8 v[96:99], a[180:181], v[220:221], v[96:99]// 000000004AC0: D3D70060 0D83B9B4
	v_mfma_i32_16x16x32_i8 v[96:99], a[182:183], v[222:223], v[96:99]// 000000004AC8: D3D70060 0D83BDB6
	v_mfma_i32_16x16x32_i8 v[96:99], a[184:185], v[224:225], v[96:99]// 000000004AD0: D3D70060 0D83C1B8
	v_mfma_i32_16x16x32_i8 v[96:99], a[186:187], v[226:227], v[96:99]// 000000004AD8: D3D70060 0D83C5BA
	buffer_load_dwordx4 a[68:71], v38, s[24:27], 0 offen offset:1024// 000000004AE0: E05C1400 80864426
	v_mfma_i32_16x16x32_i8 v[96:99], a[188:189], v[228:229], v[96:99]// 000000004AE8: D3D70060 0D83C9BC
	v_mfma_i32_16x16x32_i8 v[96:99], a[190:191], v[230:231], v[96:99]// 000000004AF0: D3D70060 0D83CDBE
	v_mfma_i32_16x16x32_i8 v[100:103], a[176:177], v[232:233], v[100:103]// 000000004AF8: D3D70064 0D93D1B0
	v_mfma_i32_16x16x32_i8 v[100:103], a[178:179], v[234:235], v[100:103]// 000000004B00: D3D70064 0D93D5B2
	buffer_load_dwordx4 a[72:75], v38, s[24:27], 0 offen offset:2048// 000000004B08: E05C1800 80864826
	v_mfma_i32_16x16x32_i8 v[100:103], a[180:181], v[236:237], v[100:103]// 000000004B10: D3D70064 0D93D9B4
	v_mfma_i32_16x16x32_i8 v[100:103], a[182:183], v[238:239], v[100:103]// 000000004B18: D3D70064 0D93DDB6
	v_mfma_i32_16x16x32_i8 v[100:103], a[184:185], v[240:241], v[100:103]// 000000004B20: D3D70064 0D93E1B8
	v_mfma_i32_16x16x32_i8 v[100:103], a[186:187], v[242:243], v[100:103]// 000000004B28: D3D70064 0D93E5BA
	buffer_load_dwordx4 a[76:79], v38, s[24:27], 0 offen offset:3072// 000000004B30: E05C1C00 80864C26
	v_mfma_i32_16x16x32_i8 v[100:103], a[188:189], v[244:245], v[100:103]// 000000004B38: D3D70064 0D93E9BC
	v_mfma_i32_16x16x32_i8 v[100:103], a[190:191], v[246:247], v[100:103]// 000000004B40: D3D70064 0D93EDBE
	s_waitcnt vmcnt(24)                                        // 000000004B48: BF8C4F78
	v_mfma_i32_16x16x32_i8 v[104:107], a[192:193], v[216:217], v[104:107]// 000000004B4C: D3D70068 0DA3B1C0
	v_mfma_i32_16x16x32_i8 v[104:107], a[194:195], v[218:219], v[104:107]// 000000004B54: D3D70068 0DA3B5C2
	buffer_load_dwordx4 a[80:83], v39, s[24:27], 0 offen       // 000000004B5C: E05C1000 80865027
	v_mfma_i32_16x16x32_i8 v[104:107], a[196:197], v[220:221], v[104:107]// 000000004B64: D3D70068 0DA3B9C4
	v_mfma_i32_16x16x32_i8 v[104:107], a[198:199], v[222:223], v[104:107]// 000000004B6C: D3D70068 0DA3BDC6
	v_mfma_i32_16x16x32_i8 v[104:107], a[200:201], v[224:225], v[104:107]// 000000004B74: D3D70068 0DA3C1C8
	v_mfma_i32_16x16x32_i8 v[104:107], a[202:203], v[226:227], v[104:107]// 000000004B7C: D3D70068 0DA3C5CA
	buffer_load_dwordx4 a[84:87], v39, s[24:27], 0 offen offset:1024// 000000004B84: E05C1400 80865427
	v_mfma_i32_16x16x32_i8 v[104:107], a[204:205], v[228:229], v[104:107]// 000000004B8C: D3D70068 0DA3C9CC
	v_mfma_i32_16x16x32_i8 v[104:107], a[206:207], v[230:231], v[104:107]// 000000004B94: D3D70068 0DA3CDCE
	v_mfma_i32_16x16x32_i8 v[108:111], a[192:193], v[232:233], v[108:111]// 000000004B9C: D3D7006C 0DB3D1C0
	v_mfma_i32_16x16x32_i8 v[108:111], a[194:195], v[234:235], v[108:111]// 000000004BA4: D3D7006C 0DB3D5C2
	buffer_load_dwordx4 a[88:91], v39, s[24:27], 0 offen offset:2048// 000000004BAC: E05C1800 80865827
	v_mfma_i32_16x16x32_i8 v[108:111], a[196:197], v[236:237], v[108:111]// 000000004BB4: D3D7006C 0DB3D9C4
	v_mfma_i32_16x16x32_i8 v[108:111], a[198:199], v[238:239], v[108:111]// 000000004BBC: D3D7006C 0DB3DDC6
	v_mfma_i32_16x16x32_i8 v[108:111], a[200:201], v[240:241], v[108:111]// 000000004BC4: D3D7006C 0DB3E1C8
	v_mfma_i32_16x16x32_i8 v[108:111], a[202:203], v[242:243], v[108:111]// 000000004BCC: D3D7006C 0DB3E5CA
	buffer_load_dwordx4 a[92:95], v39, s[24:27], 0 offen offset:3072// 000000004BD4: E05C1C00 80865C27
	v_mfma_i32_16x16x32_i8 v[108:111], a[204:205], v[244:245], v[108:111]// 000000004BDC: D3D7006C 0DB3E9CC
	v_mfma_i32_16x16x32_i8 v[108:111], a[206:207], v[246:247], v[108:111]// 000000004BE4: D3D7006C 0DB3EDCE
	s_waitcnt vmcnt(24)                                        // 000000004BEC: BF8C4F78
	v_mfma_i32_16x16x32_i8 v[112:115], a[208:209], v[216:217], v[112:115]// 000000004BF0: D3D70070 0DC3B1D0
	v_mfma_i32_16x16x32_i8 v[112:115], a[210:211], v[218:219], v[112:115]// 000000004BF8: D3D70070 0DC3B5D2
	buffer_load_dwordx4 a[96:99], v40, s[24:27], 0 offen       // 000000004C00: E05C1000 80866028
	v_mfma_i32_16x16x32_i8 v[112:115], a[212:213], v[220:221], v[112:115]// 000000004C08: D3D70070 0DC3B9D4
	v_mfma_i32_16x16x32_i8 v[112:115], a[214:215], v[222:223], v[112:115]// 000000004C10: D3D70070 0DC3BDD6
	v_mfma_i32_16x16x32_i8 v[112:115], a[216:217], v[224:225], v[112:115]// 000000004C18: D3D70070 0DC3C1D8
	v_mfma_i32_16x16x32_i8 v[112:115], a[218:219], v[226:227], v[112:115]// 000000004C20: D3D70070 0DC3C5DA
	buffer_load_dwordx4 a[100:103], v40, s[24:27], 0 offen offset:1024// 000000004C28: E05C1400 80866428
	v_mfma_i32_16x16x32_i8 v[112:115], a[220:221], v[228:229], v[112:115]// 000000004C30: D3D70070 0DC3C9DC
	v_mfma_i32_16x16x32_i8 v[112:115], a[222:223], v[230:231], v[112:115]// 000000004C38: D3D70070 0DC3CDDE
	v_mfma_i32_16x16x32_i8 v[116:119], a[208:209], v[232:233], v[116:119]// 000000004C40: D3D70074 0DD3D1D0
	v_mfma_i32_16x16x32_i8 v[116:119], a[210:211], v[234:235], v[116:119]// 000000004C48: D3D70074 0DD3D5D2
	buffer_load_dwordx4 a[104:107], v40, s[24:27], 0 offen offset:2048// 000000004C50: E05C1800 80866828
	v_mfma_i32_16x16x32_i8 v[116:119], a[212:213], v[236:237], v[116:119]// 000000004C58: D3D70074 0DD3D9D4
	v_mfma_i32_16x16x32_i8 v[116:119], a[214:215], v[238:239], v[116:119]// 000000004C60: D3D70074 0DD3DDD6
	v_mfma_i32_16x16x32_i8 v[116:119], a[216:217], v[240:241], v[116:119]// 000000004C68: D3D70074 0DD3E1D8
	v_mfma_i32_16x16x32_i8 v[116:119], a[218:219], v[242:243], v[116:119]// 000000004C70: D3D70074 0DD3E5DA
	buffer_load_dwordx4 a[108:111], v40, s[24:27], 0 offen offset:3072// 000000004C78: E05C1C00 80866C28
	v_mfma_i32_16x16x32_i8 v[116:119], a[220:221], v[244:245], v[116:119]// 000000004C80: D3D70074 0DD3E9DC
	v_mfma_i32_16x16x32_i8 v[116:119], a[222:223], v[246:247], v[116:119]// 000000004C88: D3D70074 0DD3EDDE
	s_add_u32 s60, 0x200, s80                                  // 000000004C90: 803C50FF 00000200
	s_cmp_lt_u32 s60, s81                                      // 000000004C98: BF0A513C
	s_cselect_b32 s57, s57, 0                                  // 000000004C9C: 85398039
	s_add_u32 s60, 0x200, s80                                  // 000000004CA0: 803C50FF 00000200
	s_cmp_lt_u32 s60, s81                                      // 000000004CA8: BF0A513C
	s_cselect_b32 s58, s58, 0                                  // 000000004CAC: 853A803A
	s_add_u32 s20, s57, s20                                    // 000000004CB0: 80141439
	s_addc_u32 s21, 0, s21                                     // 000000004CB4: 82151580
	s_add_u32 s24, s58, s24                                    // 000000004CB8: 8018183A
	s_addc_u32 s25, 0, s25                                     // 000000004CBC: 82191980
	s_add_u32 s92, s90, s92                                    // 000000004CC0: 805C5C5A
	s_addc_u32 s93, 0, s93                                     // 000000004CC4: 825D5D80
	s_addk_i32 s80, 0x100                                      // 000000004CC8: B7500100
	s_cmp_lt_i32 s80, s81                                      // 000000004CCC: BF045150
	s_cbranch_scc0 label_07B6                                  // 000000004CD0: BF840001
	s_branch label_02B9                                        // 000000004CD4: BF82FB03

0000000000004cd8 <label_07B6>:
	s_mov_b32 s36, -1                                          // 000000004CD8: BEA400C1
	s_mov_b32 s37, -1                                          // 000000004CDC: BEA500C1
	s_mov_b64 s[60:61], 0                                      // 000000004CE0: BEBC0180
	s_cmp_lt_u32 s82, s66                                      // 000000004CE4: BF0A4252
	s_cselect_b64 s[20:21], s[36:37], s[60:61]                 // 000000004CE8: 85943C24
	s_cmp_lt_u32 s83, s66                                      // 000000004CEC: BF0A4253
	s_cselect_b64 s[22:23], s[36:37], s[60:61]                 // 000000004CF0: 85963C24
	s_cmp_lt_u32 s84, s66                                      // 000000004CF4: BF0A4254
	s_cselect_b64 s[24:25], s[36:37], s[60:61]                 // 000000004CF8: 85983C24
	s_cmp_lt_u32 s85, s66                                      // 000000004CFC: BF0A4255
	s_cselect_b64 s[26:27], s[36:37], s[60:61]                 // 000000004D00: 859A3C24
	s_cmp_lt_u32 s86, s66                                      // 000000004D04: BF0A4256
	s_cselect_b64 s[28:29], s[36:37], s[60:61]                 // 000000004D08: 859C3C24
	s_cmp_lt_u32 s87, s66                                      // 000000004D0C: BF0A4257
	s_cselect_b64 s[30:31], s[36:37], s[60:61]                 // 000000004D10: 859E3C24
	s_cmp_lt_u32 s88, s66                                      // 000000004D14: BF0A4258
	s_cselect_b64 s[32:33], s[36:37], s[60:61]                 // 000000004D18: 85A03C24
	s_cmp_lt_u32 s89, s66                                      // 000000004D1C: BF0A4259
	s_cselect_b64 s[34:35], s[36:37], s[60:61]                 // 000000004D20: 85A23C24
	v_cvt_f32_i32_e32 v128, v128                               // 000000004D24: 7F000B80
	v_cvt_f32_i32_e32 v129, v129                               // 000000004D28: 7F020B81
	v_cvt_f32_i32_e32 v130, v130                               // 000000004D2C: 7F040B82
	v_cvt_f32_i32_e32 v131, v131                               // 000000004D30: 7F060B83
	v_mul_f32_e32 v128, v14, v128                              // 000000004D34: 0B01010E
	v_mul_f32_e32 v129, v14, v129                              // 000000004D38: 0B03030E
	v_mul_f32_e32 v130, v14, v130                              // 000000004D3C: 0B05050E
	v_mul_f32_e32 v131, v14, v131                              // 000000004D40: 0B07070E
	v_mul_f32_dpp v128, v16, v128 row_newbcast:0 row_mask:0xf bank_mask:0xf// 000000004D44: 0B0100FA FF015010
	v_mul_f32_dpp v129, v16, v129 row_newbcast:1 row_mask:0xf bank_mask:0xf// 000000004D4C: 0B0302FA FF015110
	v_mul_f32_dpp v130, v16, v130 row_newbcast:2 row_mask:0xf bank_mask:0xf// 000000004D54: 0B0504FA FF015210
	v_mul_f32_dpp v131, v16, v131 row_newbcast:3 row_mask:0xf bank_mask:0xf// 000000004D5C: 0B0706FA FF015310
	v_cvt_f32_i32_e32 v132, v132                               // 000000004D64: 7F080B84
	v_cvt_f32_i32_e32 v133, v133                               // 000000004D68: 7F0A0B85
	v_cvt_f32_i32_e32 v134, v134                               // 000000004D6C: 7F0C0B86
	v_cvt_f32_i32_e32 v135, v135                               // 000000004D70: 7F0E0B87
	v_mul_f32_e32 v132, v15, v132                              // 000000004D74: 0B09090F
	v_mul_f32_e32 v133, v15, v133                              // 000000004D78: 0B0B0B0F
	v_mul_f32_e32 v134, v15, v134                              // 000000004D7C: 0B0D0D0F
	v_mul_f32_e32 v135, v15, v135                              // 000000004D80: 0B0F0F0F
	v_mul_f32_dpp v132, v16, v132 row_newbcast:0 row_mask:0xf bank_mask:0xf// 000000004D84: 0B0908FA FF015010
	v_mul_f32_dpp v133, v16, v133 row_newbcast:1 row_mask:0xf bank_mask:0xf// 000000004D8C: 0B0B0AFA FF015110
	v_mul_f32_dpp v134, v16, v134 row_newbcast:2 row_mask:0xf bank_mask:0xf// 000000004D94: 0B0D0CFA FF015210
	v_mul_f32_dpp v135, v16, v135 row_newbcast:3 row_mask:0xf bank_mask:0xf// 000000004D9C: 0B0F0EFA FF015310
	v_cvt_f32_i32_e32 v136, v136                               // 000000004DA4: 7F100B88
	v_cvt_f32_i32_e32 v137, v137                               // 000000004DA8: 7F120B89
	v_cvt_f32_i32_e32 v138, v138                               // 000000004DAC: 7F140B8A
	v_cvt_f32_i32_e32 v139, v139                               // 000000004DB0: 7F160B8B
	v_mul_f32_e32 v136, v14, v136                              // 000000004DB4: 0B11110E
	v_mul_f32_e32 v137, v14, v137                              // 000000004DB8: 0B13130E
	v_mul_f32_e32 v138, v14, v138                              // 000000004DBC: 0B15150E
	v_mul_f32_e32 v139, v14, v139                              // 000000004DC0: 0B17170E
	v_mul_f32_dpp v136, v16, v136 row_newbcast:4 row_mask:0xf bank_mask:0xf// 000000004DC4: 0B1110FA FF015410
	v_mul_f32_dpp v137, v16, v137 row_newbcast:5 row_mask:0xf bank_mask:0xf// 000000004DCC: 0B1312FA FF015510
	v_mul_f32_dpp v138, v16, v138 row_newbcast:6 row_mask:0xf bank_mask:0xf// 000000004DD4: 0B1514FA FF015610
	v_mul_f32_dpp v139, v16, v139 row_newbcast:7 row_mask:0xf bank_mask:0xf// 000000004DDC: 0B1716FA FF015710
	v_cvt_f32_i32_e32 v140, v140                               // 000000004DE4: 7F180B8C
	v_cvt_f32_i32_e32 v141, v141                               // 000000004DE8: 7F1A0B8D
	v_cvt_f32_i32_e32 v142, v142                               // 000000004DEC: 7F1C0B8E
	v_cvt_f32_i32_e32 v143, v143                               // 000000004DF0: 7F1E0B8F
	v_mul_f32_e32 v140, v15, v140                              // 000000004DF4: 0B19190F
	v_mul_f32_e32 v141, v15, v141                              // 000000004DF8: 0B1B1B0F
	v_mul_f32_e32 v142, v15, v142                              // 000000004DFC: 0B1D1D0F
	v_mul_f32_e32 v143, v15, v143                              // 000000004E00: 0B1F1F0F
	v_mul_f32_dpp v140, v16, v140 row_newbcast:4 row_mask:0xf bank_mask:0xf// 000000004E04: 0B1918FA FF015410
	v_mul_f32_dpp v141, v16, v141 row_newbcast:5 row_mask:0xf bank_mask:0xf// 000000004E0C: 0B1B1AFA FF015510
	v_mul_f32_dpp v142, v16, v142 row_newbcast:6 row_mask:0xf bank_mask:0xf// 000000004E14: 0B1D1CFA FF015610
	v_mul_f32_dpp v143, v16, v143 row_newbcast:7 row_mask:0xf bank_mask:0xf// 000000004E1C: 0B1F1EFA FF015710
	v_cvt_f32_i32_e32 v144, v144                               // 000000004E24: 7F200B90
	v_cvt_f32_i32_e32 v145, v145                               // 000000004E28: 7F220B91
	v_cvt_f32_i32_e32 v146, v146                               // 000000004E2C: 7F240B92
	v_cvt_f32_i32_e32 v147, v147                               // 000000004E30: 7F260B93
	v_mul_f32_e32 v144, v14, v144                              // 000000004E34: 0B21210E
	v_mul_f32_e32 v145, v14, v145                              // 000000004E38: 0B23230E
	v_mul_f32_e32 v146, v14, v146                              // 000000004E3C: 0B25250E
	v_mul_f32_e32 v147, v14, v147                              // 000000004E40: 0B27270E
	v_mul_f32_dpp v144, v16, v144 row_newbcast:8 row_mask:0xf bank_mask:0xf// 000000004E44: 0B2120FA FF015810
	v_mul_f32_dpp v145, v16, v145 row_newbcast:9 row_mask:0xf bank_mask:0xf// 000000004E4C: 0B2322FA FF015910
	v_mul_f32_dpp v146, v16, v146 row_newbcast:10 row_mask:0xf bank_mask:0xf// 000000004E54: 0B2524FA FF015A10
	v_mul_f32_dpp v147, v16, v147 row_newbcast:11 row_mask:0xf bank_mask:0xf// 000000004E5C: 0B2726FA FF015B10
	v_cvt_f32_i32_e32 v148, v148                               // 000000004E64: 7F280B94
	v_cvt_f32_i32_e32 v149, v149                               // 000000004E68: 7F2A0B95
	v_cvt_f32_i32_e32 v150, v150                               // 000000004E6C: 7F2C0B96
	v_cvt_f32_i32_e32 v151, v151                               // 000000004E70: 7F2E0B97
	v_mul_f32_e32 v148, v15, v148                              // 000000004E74: 0B29290F
	v_mul_f32_e32 v149, v15, v149                              // 000000004E78: 0B2B2B0F
	v_mul_f32_e32 v150, v15, v150                              // 000000004E7C: 0B2D2D0F
	v_mul_f32_e32 v151, v15, v151                              // 000000004E80: 0B2F2F0F
	v_mul_f32_dpp v148, v16, v148 row_newbcast:8 row_mask:0xf bank_mask:0xf// 000000004E84: 0B2928FA FF015810
	v_mul_f32_dpp v149, v16, v149 row_newbcast:9 row_mask:0xf bank_mask:0xf// 000000004E8C: 0B2B2AFA FF015910
	v_mul_f32_dpp v150, v16, v150 row_newbcast:10 row_mask:0xf bank_mask:0xf// 000000004E94: 0B2D2CFA FF015A10
	v_mul_f32_dpp v151, v16, v151 row_newbcast:11 row_mask:0xf bank_mask:0xf// 000000004E9C: 0B2F2EFA FF015B10
	v_cvt_f32_i32_e32 v152, v152                               // 000000004EA4: 7F300B98
	v_cvt_f32_i32_e32 v153, v153                               // 000000004EA8: 7F320B99
	v_cvt_f32_i32_e32 v154, v154                               // 000000004EAC: 7F340B9A
	v_cvt_f32_i32_e32 v155, v155                               // 000000004EB0: 7F360B9B
	v_mul_f32_e32 v152, v14, v152                              // 000000004EB4: 0B31310E
	v_mul_f32_e32 v153, v14, v153                              // 000000004EB8: 0B33330E
	v_mul_f32_e32 v154, v14, v154                              // 000000004EBC: 0B35350E
	v_mul_f32_e32 v155, v14, v155                              // 000000004EC0: 0B37370E
	v_mul_f32_dpp v152, v16, v152 row_newbcast:12 row_mask:0xf bank_mask:0xf// 000000004EC4: 0B3130FA FF015C10
	v_mul_f32_dpp v153, v16, v153 row_newbcast:13 row_mask:0xf bank_mask:0xf// 000000004ECC: 0B3332FA FF015D10
	v_mul_f32_dpp v154, v16, v154 row_newbcast:14 row_mask:0xf bank_mask:0xf// 000000004ED4: 0B3534FA FF015E10
	v_mul_f32_dpp v155, v16, v155 row_newbcast:15 row_mask:0xf bank_mask:0xf// 000000004EDC: 0B3736FA FF015F10
	v_cvt_f32_i32_e32 v156, v156                               // 000000004EE4: 7F380B9C
	v_cvt_f32_i32_e32 v157, v157                               // 000000004EE8: 7F3A0B9D
	v_cvt_f32_i32_e32 v158, v158                               // 000000004EEC: 7F3C0B9E
	v_cvt_f32_i32_e32 v159, v159                               // 000000004EF0: 7F3E0B9F
	v_mul_f32_e32 v156, v15, v156                              // 000000004EF4: 0B39390F
	v_mul_f32_e32 v157, v15, v157                              // 000000004EF8: 0B3B3B0F
	v_mul_f32_e32 v158, v15, v158                              // 000000004EFC: 0B3D3D0F
	v_mul_f32_e32 v159, v15, v159                              // 000000004F00: 0B3F3F0F
	v_mul_f32_dpp v156, v16, v156 row_newbcast:12 row_mask:0xf bank_mask:0xf// 000000004F04: 0B3938FA FF015C10
	v_mul_f32_dpp v157, v16, v157 row_newbcast:13 row_mask:0xf bank_mask:0xf// 000000004F0C: 0B3B3AFA FF015D10
	v_mul_f32_dpp v158, v16, v158 row_newbcast:14 row_mask:0xf bank_mask:0xf// 000000004F14: 0B3D3CFA FF015E10
	v_mul_f32_dpp v159, v16, v159 row_newbcast:15 row_mask:0xf bank_mask:0xf// 000000004F1C: 0B3F3EFA FF015F10
	v_cvt_f32_i32_e32 v160, v160                               // 000000004F24: 7F400BA0
	v_cvt_f32_i32_e32 v161, v161                               // 000000004F28: 7F420BA1
	v_cvt_f32_i32_e32 v162, v162                               // 000000004F2C: 7F440BA2
	v_cvt_f32_i32_e32 v163, v163                               // 000000004F30: 7F460BA3
	v_mul_f32_e32 v160, v14, v160                              // 000000004F34: 0B41410E
	v_mul_f32_e32 v161, v14, v161                              // 000000004F38: 0B43430E
	v_mul_f32_e32 v162, v14, v162                              // 000000004F3C: 0B45450E
	v_mul_f32_e32 v163, v14, v163                              // 000000004F40: 0B47470E
	v_mul_f32_dpp v160, v17, v160 row_newbcast:0 row_mask:0xf bank_mask:0xf// 000000004F44: 0B4140FA FF015011
	v_mul_f32_dpp v161, v17, v161 row_newbcast:1 row_mask:0xf bank_mask:0xf// 000000004F4C: 0B4342FA FF015111
	v_mul_f32_dpp v162, v17, v162 row_newbcast:2 row_mask:0xf bank_mask:0xf// 000000004F54: 0B4544FA FF015211
	v_mul_f32_dpp v163, v17, v163 row_newbcast:3 row_mask:0xf bank_mask:0xf// 000000004F5C: 0B4746FA FF015311
	v_cvt_f32_i32_e32 v164, v164                               // 000000004F64: 7F480BA4
	v_cvt_f32_i32_e32 v165, v165                               // 000000004F68: 7F4A0BA5
	v_cvt_f32_i32_e32 v166, v166                               // 000000004F6C: 7F4C0BA6
	v_cvt_f32_i32_e32 v167, v167                               // 000000004F70: 7F4E0BA7
	v_mul_f32_e32 v164, v15, v164                              // 000000004F74: 0B49490F
	v_mul_f32_e32 v165, v15, v165                              // 000000004F78: 0B4B4B0F
	v_mul_f32_e32 v166, v15, v166                              // 000000004F7C: 0B4D4D0F
	v_mul_f32_e32 v167, v15, v167                              // 000000004F80: 0B4F4F0F
	v_mul_f32_dpp v164, v17, v164 row_newbcast:0 row_mask:0xf bank_mask:0xf// 000000004F84: 0B4948FA FF015011
	v_mul_f32_dpp v165, v17, v165 row_newbcast:1 row_mask:0xf bank_mask:0xf// 000000004F8C: 0B4B4AFA FF015111
	v_mul_f32_dpp v166, v17, v166 row_newbcast:2 row_mask:0xf bank_mask:0xf// 000000004F94: 0B4D4CFA FF015211
	v_mul_f32_dpp v167, v17, v167 row_newbcast:3 row_mask:0xf bank_mask:0xf// 000000004F9C: 0B4F4EFA FF015311
	v_cvt_f32_i32_e32 v168, v168                               // 000000004FA4: 7F500BA8
	v_cvt_f32_i32_e32 v169, v169                               // 000000004FA8: 7F520BA9
	v_cvt_f32_i32_e32 v170, v170                               // 000000004FAC: 7F540BAA
	v_cvt_f32_i32_e32 v171, v171                               // 000000004FB0: 7F560BAB
	v_mul_f32_e32 v168, v14, v168                              // 000000004FB4: 0B51510E
	v_mul_f32_e32 v169, v14, v169                              // 000000004FB8: 0B53530E
	v_mul_f32_e32 v170, v14, v170                              // 000000004FBC: 0B55550E
	v_mul_f32_e32 v171, v14, v171                              // 000000004FC0: 0B57570E
	v_mul_f32_dpp v168, v17, v168 row_newbcast:4 row_mask:0xf bank_mask:0xf// 000000004FC4: 0B5150FA FF015411
	v_mul_f32_dpp v169, v17, v169 row_newbcast:5 row_mask:0xf bank_mask:0xf// 000000004FCC: 0B5352FA FF015511
	v_mul_f32_dpp v170, v17, v170 row_newbcast:6 row_mask:0xf bank_mask:0xf// 000000004FD4: 0B5554FA FF015611
	v_mul_f32_dpp v171, v17, v171 row_newbcast:7 row_mask:0xf bank_mask:0xf// 000000004FDC: 0B5756FA FF015711
	v_cvt_f32_i32_e32 v172, v172                               // 000000004FE4: 7F580BAC
	v_cvt_f32_i32_e32 v173, v173                               // 000000004FE8: 7F5A0BAD
	v_cvt_f32_i32_e32 v174, v174                               // 000000004FEC: 7F5C0BAE
	v_cvt_f32_i32_e32 v175, v175                               // 000000004FF0: 7F5E0BAF
	v_mul_f32_e32 v172, v15, v172                              // 000000004FF4: 0B59590F
	v_mul_f32_e32 v173, v15, v173                              // 000000004FF8: 0B5B5B0F
	v_mul_f32_e32 v174, v15, v174                              // 000000004FFC: 0B5D5D0F
	v_mul_f32_e32 v175, v15, v175                              // 000000005000: 0B5F5F0F
	v_mul_f32_dpp v172, v17, v172 row_newbcast:4 row_mask:0xf bank_mask:0xf// 000000005004: 0B5958FA FF015411
	v_mul_f32_dpp v173, v17, v173 row_newbcast:5 row_mask:0xf bank_mask:0xf// 00000000500C: 0B5B5AFA FF015511
	v_mul_f32_dpp v174, v17, v174 row_newbcast:6 row_mask:0xf bank_mask:0xf// 000000005014: 0B5D5CFA FF015611
	v_mul_f32_dpp v175, v17, v175 row_newbcast:7 row_mask:0xf bank_mask:0xf// 00000000501C: 0B5F5EFA FF015711
	v_cvt_f32_i32_e32 v176, v176                               // 000000005024: 7F600BB0
	v_cvt_f32_i32_e32 v177, v177                               // 000000005028: 7F620BB1
	v_cvt_f32_i32_e32 v178, v178                               // 00000000502C: 7F640BB2
	v_cvt_f32_i32_e32 v179, v179                               // 000000005030: 7F660BB3
	v_mul_f32_e32 v176, v14, v176                              // 000000005034: 0B61610E
	v_mul_f32_e32 v177, v14, v177                              // 000000005038: 0B63630E
	v_mul_f32_e32 v178, v14, v178                              // 00000000503C: 0B65650E
	v_mul_f32_e32 v179, v14, v179                              // 000000005040: 0B67670E
	v_mul_f32_dpp v176, v17, v176 row_newbcast:8 row_mask:0xf bank_mask:0xf// 000000005044: 0B6160FA FF015811
	v_mul_f32_dpp v177, v17, v177 row_newbcast:9 row_mask:0xf bank_mask:0xf// 00000000504C: 0B6362FA FF015911
	v_mul_f32_dpp v178, v17, v178 row_newbcast:10 row_mask:0xf bank_mask:0xf// 000000005054: 0B6564FA FF015A11
	v_mul_f32_dpp v179, v17, v179 row_newbcast:11 row_mask:0xf bank_mask:0xf// 00000000505C: 0B6766FA FF015B11
	v_cvt_f32_i32_e32 v180, v180                               // 000000005064: 7F680BB4
	v_cvt_f32_i32_e32 v181, v181                               // 000000005068: 7F6A0BB5
	v_cvt_f32_i32_e32 v182, v182                               // 00000000506C: 7F6C0BB6
	v_cvt_f32_i32_e32 v183, v183                               // 000000005070: 7F6E0BB7
	v_mul_f32_e32 v180, v15, v180                              // 000000005074: 0B69690F
	v_mul_f32_e32 v181, v15, v181                              // 000000005078: 0B6B6B0F
	v_mul_f32_e32 v182, v15, v182                              // 00000000507C: 0B6D6D0F
	v_mul_f32_e32 v183, v15, v183                              // 000000005080: 0B6F6F0F
	v_mul_f32_dpp v180, v17, v180 row_newbcast:8 row_mask:0xf bank_mask:0xf// 000000005084: 0B6968FA FF015811
	v_mul_f32_dpp v181, v17, v181 row_newbcast:9 row_mask:0xf bank_mask:0xf// 00000000508C: 0B6B6AFA FF015911
	v_mul_f32_dpp v182, v17, v182 row_newbcast:10 row_mask:0xf bank_mask:0xf// 000000005094: 0B6D6CFA FF015A11
	v_mul_f32_dpp v183, v17, v183 row_newbcast:11 row_mask:0xf bank_mask:0xf// 00000000509C: 0B6F6EFA FF015B11
	v_cvt_f32_i32_e32 v64, v64                                 // 0000000050A4: 7E800B40
	v_cvt_f32_i32_e32 v65, v65                                 // 0000000050A8: 7E820B41
	v_cvt_f32_i32_e32 v66, v66                                 // 0000000050AC: 7E840B42
	v_cvt_f32_i32_e32 v67, v67                                 // 0000000050B0: 7E860B43
	v_mul_f32_e32 v64, v14, v64                                // 0000000050B4: 0A80810E
	v_mul_f32_e32 v65, v14, v65                                // 0000000050B8: 0A82830E
	v_mul_f32_e32 v66, v14, v66                                // 0000000050BC: 0A84850E
	v_mul_f32_e32 v67, v14, v67                                // 0000000050C0: 0A86870E
	v_mul_f32_dpp v64, v49, v64 row_newbcast:0 row_mask:0xf bank_mask:0xf// 0000000050C4: 0A8080FA FF015031
	v_mul_f32_dpp v65, v49, v65 row_newbcast:1 row_mask:0xf bank_mask:0xf// 0000000050CC: 0A8282FA FF015131
	v_mul_f32_dpp v66, v49, v66 row_newbcast:2 row_mask:0xf bank_mask:0xf// 0000000050D4: 0A8484FA FF015231
	v_mul_f32_dpp v67, v49, v67 row_newbcast:3 row_mask:0xf bank_mask:0xf// 0000000050DC: 0A8686FA FF015331
	v_cvt_f32_i32_e32 v68, v68                                 // 0000000050E4: 7E880B44
	v_cvt_f32_i32_e32 v69, v69                                 // 0000000050E8: 7E8A0B45
	v_cvt_f32_i32_e32 v70, v70                                 // 0000000050EC: 7E8C0B46
	v_cvt_f32_i32_e32 v71, v71                                 // 0000000050F0: 7E8E0B47
	v_mul_f32_e32 v68, v15, v68                                // 0000000050F4: 0A88890F
	v_mul_f32_e32 v69, v15, v69                                // 0000000050F8: 0A8A8B0F
	v_mul_f32_e32 v70, v15, v70                                // 0000000050FC: 0A8C8D0F
	v_mul_f32_e32 v71, v15, v71                                // 000000005100: 0A8E8F0F
	v_mul_f32_dpp v68, v49, v68 row_newbcast:0 row_mask:0xf bank_mask:0xf// 000000005104: 0A8888FA FF015031
	v_mul_f32_dpp v69, v49, v69 row_newbcast:1 row_mask:0xf bank_mask:0xf// 00000000510C: 0A8A8AFA FF015131
	v_mul_f32_dpp v70, v49, v70 row_newbcast:2 row_mask:0xf bank_mask:0xf// 000000005114: 0A8C8CFA FF015231
	v_mul_f32_dpp v71, v49, v71 row_newbcast:3 row_mask:0xf bank_mask:0xf// 00000000511C: 0A8E8EFA FF015331
	v_cvt_f32_i32_e32 v72, v72                                 // 000000005124: 7E900B48
	v_cvt_f32_i32_e32 v73, v73                                 // 000000005128: 7E920B49
	v_cvt_f32_i32_e32 v74, v74                                 // 00000000512C: 7E940B4A
	v_cvt_f32_i32_e32 v75, v75                                 // 000000005130: 7E960B4B
	v_mul_f32_e32 v72, v14, v72                                // 000000005134: 0A90910E
	v_mul_f32_e32 v73, v14, v73                                // 000000005138: 0A92930E
	v_mul_f32_e32 v74, v14, v74                                // 00000000513C: 0A94950E
	v_mul_f32_e32 v75, v14, v75                                // 000000005140: 0A96970E
	v_mul_f32_dpp v72, v49, v72 row_newbcast:4 row_mask:0xf bank_mask:0xf// 000000005144: 0A9090FA FF015431
	v_mul_f32_dpp v73, v49, v73 row_newbcast:5 row_mask:0xf bank_mask:0xf// 00000000514C: 0A9292FA FF015531
	v_mul_f32_dpp v74, v49, v74 row_newbcast:6 row_mask:0xf bank_mask:0xf// 000000005154: 0A9494FA FF015631
	v_mul_f32_dpp v75, v49, v75 row_newbcast:7 row_mask:0xf bank_mask:0xf// 00000000515C: 0A9696FA FF015731
	v_cvt_f32_i32_e32 v76, v76                                 // 000000005164: 7E980B4C
	v_cvt_f32_i32_e32 v77, v77                                 // 000000005168: 7E9A0B4D
	v_cvt_f32_i32_e32 v78, v78                                 // 00000000516C: 7E9C0B4E
	v_cvt_f32_i32_e32 v79, v79                                 // 000000005170: 7E9E0B4F
	v_mul_f32_e32 v76, v15, v76                                // 000000005174: 0A98990F
	v_mul_f32_e32 v77, v15, v77                                // 000000005178: 0A9A9B0F
	v_mul_f32_e32 v78, v15, v78                                // 00000000517C: 0A9C9D0F
	v_mul_f32_e32 v79, v15, v79                                // 000000005180: 0A9E9F0F
	v_mul_f32_dpp v76, v49, v76 row_newbcast:4 row_mask:0xf bank_mask:0xf// 000000005184: 0A9898FA FF015431
	v_mul_f32_dpp v77, v49, v77 row_newbcast:5 row_mask:0xf bank_mask:0xf// 00000000518C: 0A9A9AFA FF015531
	v_mul_f32_dpp v78, v49, v78 row_newbcast:6 row_mask:0xf bank_mask:0xf// 000000005194: 0A9C9CFA FF015631
	v_mul_f32_dpp v79, v49, v79 row_newbcast:7 row_mask:0xf bank_mask:0xf// 00000000519C: 0A9E9EFA FF015731
	v_cvt_f32_i32_e32 v80, v80                                 // 0000000051A4: 7EA00B50
	v_cvt_f32_i32_e32 v81, v81                                 // 0000000051A8: 7EA20B51
	v_cvt_f32_i32_e32 v82, v82                                 // 0000000051AC: 7EA40B52
	v_cvt_f32_i32_e32 v83, v83                                 // 0000000051B0: 7EA60B53
	v_mul_f32_e32 v80, v14, v80                                // 0000000051B4: 0AA0A10E
	v_mul_f32_e32 v81, v14, v81                                // 0000000051B8: 0AA2A30E
	v_mul_f32_e32 v82, v14, v82                                // 0000000051BC: 0AA4A50E
	v_mul_f32_e32 v83, v14, v83                                // 0000000051C0: 0AA6A70E
	v_mul_f32_dpp v80, v49, v80 row_newbcast:8 row_mask:0xf bank_mask:0xf// 0000000051C4: 0AA0A0FA FF015831
	v_mul_f32_dpp v81, v49, v81 row_newbcast:9 row_mask:0xf bank_mask:0xf// 0000000051CC: 0AA2A2FA FF015931
	v_mul_f32_dpp v82, v49, v82 row_newbcast:10 row_mask:0xf bank_mask:0xf// 0000000051D4: 0AA4A4FA FF015A31
	v_mul_f32_dpp v83, v49, v83 row_newbcast:11 row_mask:0xf bank_mask:0xf// 0000000051DC: 0AA6A6FA FF015B31
	v_cvt_f32_i32_e32 v84, v84                                 // 0000000051E4: 7EA80B54
	v_cvt_f32_i32_e32 v85, v85                                 // 0000000051E8: 7EAA0B55
	v_cvt_f32_i32_e32 v86, v86                                 // 0000000051EC: 7EAC0B56
	v_cvt_f32_i32_e32 v87, v87                                 // 0000000051F0: 7EAE0B57
	v_mul_f32_e32 v84, v15, v84                                // 0000000051F4: 0AA8A90F
	v_mul_f32_e32 v85, v15, v85                                // 0000000051F8: 0AAAAB0F
	v_mul_f32_e32 v86, v15, v86                                // 0000000051FC: 0AACAD0F
	v_mul_f32_e32 v87, v15, v87                                // 000000005200: 0AAEAF0F
	v_mul_f32_dpp v84, v49, v84 row_newbcast:8 row_mask:0xf bank_mask:0xf// 000000005204: 0AA8A8FA FF015831
	v_mul_f32_dpp v85, v49, v85 row_newbcast:9 row_mask:0xf bank_mask:0xf// 00000000520C: 0AAAAAFA FF015931
	v_mul_f32_dpp v86, v49, v86 row_newbcast:10 row_mask:0xf bank_mask:0xf// 000000005214: 0AACACFA FF015A31
	v_mul_f32_dpp v87, v49, v87 row_newbcast:11 row_mask:0xf bank_mask:0xf// 00000000521C: 0AAEAEFA FF015B31
	v_cvt_f32_i32_e32 v88, v88                                 // 000000005224: 7EB00B58
	v_cvt_f32_i32_e32 v89, v89                                 // 000000005228: 7EB20B59
	v_cvt_f32_i32_e32 v90, v90                                 // 00000000522C: 7EB40B5A
	v_cvt_f32_i32_e32 v91, v91                                 // 000000005230: 7EB60B5B
	v_mul_f32_e32 v88, v14, v88                                // 000000005234: 0AB0B10E
	v_mul_f32_e32 v89, v14, v89                                // 000000005238: 0AB2B30E
	v_mul_f32_e32 v90, v14, v90                                // 00000000523C: 0AB4B50E
	v_mul_f32_e32 v91, v14, v91                                // 000000005240: 0AB6B70E
	v_mul_f32_dpp v88, v49, v88 row_newbcast:12 row_mask:0xf bank_mask:0xf// 000000005244: 0AB0B0FA FF015C31
	v_mul_f32_dpp v89, v49, v89 row_newbcast:13 row_mask:0xf bank_mask:0xf// 00000000524C: 0AB2B2FA FF015D31
	v_mul_f32_dpp v90, v49, v90 row_newbcast:14 row_mask:0xf bank_mask:0xf// 000000005254: 0AB4B4FA FF015E31
	v_mul_f32_dpp v91, v49, v91 row_newbcast:15 row_mask:0xf bank_mask:0xf// 00000000525C: 0AB6B6FA FF015F31
	v_cvt_f32_i32_e32 v92, v92                                 // 000000005264: 7EB80B5C
	v_cvt_f32_i32_e32 v93, v93                                 // 000000005268: 7EBA0B5D
	v_cvt_f32_i32_e32 v94, v94                                 // 00000000526C: 7EBC0B5E
	v_cvt_f32_i32_e32 v95, v95                                 // 000000005270: 7EBE0B5F
	v_mul_f32_e32 v92, v15, v92                                // 000000005274: 0AB8B90F
	v_mul_f32_e32 v93, v15, v93                                // 000000005278: 0ABABB0F
	v_mul_f32_e32 v94, v15, v94                                // 00000000527C: 0ABCBD0F
	v_mul_f32_e32 v95, v15, v95                                // 000000005280: 0ABEBF0F
	v_mul_f32_dpp v92, v49, v92 row_newbcast:12 row_mask:0xf bank_mask:0xf// 000000005284: 0AB8B8FA FF015C31
	v_mul_f32_dpp v93, v49, v93 row_newbcast:13 row_mask:0xf bank_mask:0xf// 00000000528C: 0ABABAFA FF015D31
	v_mul_f32_dpp v94, v49, v94 row_newbcast:14 row_mask:0xf bank_mask:0xf// 000000005294: 0ABCBCFA FF015E31
	v_mul_f32_dpp v95, v49, v95 row_newbcast:15 row_mask:0xf bank_mask:0xf// 00000000529C: 0ABEBEFA FF015F31
	v_cvt_f32_i32_e32 v96, v96                                 // 0000000052A4: 7EC00B60
	v_cvt_f32_i32_e32 v97, v97                                 // 0000000052A8: 7EC20B61
	v_cvt_f32_i32_e32 v98, v98                                 // 0000000052AC: 7EC40B62
	v_cvt_f32_i32_e32 v99, v99                                 // 0000000052B0: 7EC60B63
	v_mul_f32_e32 v96, v14, v96                                // 0000000052B4: 0AC0C10E
	v_mul_f32_e32 v97, v14, v97                                // 0000000052B8: 0AC2C30E
	v_mul_f32_e32 v98, v14, v98                                // 0000000052BC: 0AC4C50E
	v_mul_f32_e32 v99, v14, v99                                // 0000000052C0: 0AC6C70E
	v_mul_f32_dpp v96, v50, v96 row_newbcast:0 row_mask:0xf bank_mask:0xf// 0000000052C4: 0AC0C0FA FF015032
	v_mul_f32_dpp v97, v50, v97 row_newbcast:1 row_mask:0xf bank_mask:0xf// 0000000052CC: 0AC2C2FA FF015132
	v_mul_f32_dpp v98, v50, v98 row_newbcast:2 row_mask:0xf bank_mask:0xf// 0000000052D4: 0AC4C4FA FF015232
	v_mul_f32_dpp v99, v50, v99 row_newbcast:3 row_mask:0xf bank_mask:0xf// 0000000052DC: 0AC6C6FA FF015332
	v_cvt_f32_i32_e32 v100, v100                               // 0000000052E4: 7EC80B64
	v_cvt_f32_i32_e32 v101, v101                               // 0000000052E8: 7ECA0B65
	v_cvt_f32_i32_e32 v102, v102                               // 0000000052EC: 7ECC0B66
	v_cvt_f32_i32_e32 v103, v103                               // 0000000052F0: 7ECE0B67
	v_mul_f32_e32 v100, v15, v100                              // 0000000052F4: 0AC8C90F
	v_mul_f32_e32 v101, v15, v101                              // 0000000052F8: 0ACACB0F
	v_mul_f32_e32 v102, v15, v102                              // 0000000052FC: 0ACCCD0F
	v_mul_f32_e32 v103, v15, v103                              // 000000005300: 0ACECF0F
	v_mul_f32_dpp v100, v50, v100 row_newbcast:0 row_mask:0xf bank_mask:0xf// 000000005304: 0AC8C8FA FF015032
	v_mul_f32_dpp v101, v50, v101 row_newbcast:1 row_mask:0xf bank_mask:0xf// 00000000530C: 0ACACAFA FF015132
	v_mul_f32_dpp v102, v50, v102 row_newbcast:2 row_mask:0xf bank_mask:0xf// 000000005314: 0ACCCCFA FF015232
	v_mul_f32_dpp v103, v50, v103 row_newbcast:3 row_mask:0xf bank_mask:0xf// 00000000531C: 0ACECEFA FF015332
	v_cvt_f32_i32_e32 v104, v104                               // 000000005324: 7ED00B68
	v_cvt_f32_i32_e32 v105, v105                               // 000000005328: 7ED20B69
	v_cvt_f32_i32_e32 v106, v106                               // 00000000532C: 7ED40B6A
	v_cvt_f32_i32_e32 v107, v107                               // 000000005330: 7ED60B6B
	v_mul_f32_e32 v104, v14, v104                              // 000000005334: 0AD0D10E
	v_mul_f32_e32 v105, v14, v105                              // 000000005338: 0AD2D30E
	v_mul_f32_e32 v106, v14, v106                              // 00000000533C: 0AD4D50E
	v_mul_f32_e32 v107, v14, v107                              // 000000005340: 0AD6D70E
	v_mul_f32_dpp v104, v50, v104 row_newbcast:4 row_mask:0xf bank_mask:0xf// 000000005344: 0AD0D0FA FF015432
	v_mul_f32_dpp v105, v50, v105 row_newbcast:5 row_mask:0xf bank_mask:0xf// 00000000534C: 0AD2D2FA FF015532
	v_mul_f32_dpp v106, v50, v106 row_newbcast:6 row_mask:0xf bank_mask:0xf// 000000005354: 0AD4D4FA FF015632
	v_mul_f32_dpp v107, v50, v107 row_newbcast:7 row_mask:0xf bank_mask:0xf// 00000000535C: 0AD6D6FA FF015732
	v_cvt_f32_i32_e32 v108, v108                               // 000000005364: 7ED80B6C
	v_cvt_f32_i32_e32 v109, v109                               // 000000005368: 7EDA0B6D
	v_cvt_f32_i32_e32 v110, v110                               // 00000000536C: 7EDC0B6E
	v_cvt_f32_i32_e32 v111, v111                               // 000000005370: 7EDE0B6F
	v_mul_f32_e32 v108, v15, v108                              // 000000005374: 0AD8D90F
	v_mul_f32_e32 v109, v15, v109                              // 000000005378: 0ADADB0F
	v_mul_f32_e32 v110, v15, v110                              // 00000000537C: 0ADCDD0F
	v_mul_f32_e32 v111, v15, v111                              // 000000005380: 0ADEDF0F
	v_mul_f32_dpp v108, v50, v108 row_newbcast:4 row_mask:0xf bank_mask:0xf// 000000005384: 0AD8D8FA FF015432
	v_mul_f32_dpp v109, v50, v109 row_newbcast:5 row_mask:0xf bank_mask:0xf// 00000000538C: 0ADADAFA FF015532
	v_mul_f32_dpp v110, v50, v110 row_newbcast:6 row_mask:0xf bank_mask:0xf// 000000005394: 0ADCDCFA FF015632
	v_mul_f32_dpp v111, v50, v111 row_newbcast:7 row_mask:0xf bank_mask:0xf// 00000000539C: 0ADEDEFA FF015732
	v_cvt_f32_i32_e32 v112, v112                               // 0000000053A4: 7EE00B70
	v_cvt_f32_i32_e32 v113, v113                               // 0000000053A8: 7EE20B71
	v_cvt_f32_i32_e32 v114, v114                               // 0000000053AC: 7EE40B72
	v_cvt_f32_i32_e32 v115, v115                               // 0000000053B0: 7EE60B73
	v_mul_f32_e32 v112, v14, v112                              // 0000000053B4: 0AE0E10E
	v_mul_f32_e32 v113, v14, v113                              // 0000000053B8: 0AE2E30E
	v_mul_f32_e32 v114, v14, v114                              // 0000000053BC: 0AE4E50E
	v_mul_f32_e32 v115, v14, v115                              // 0000000053C0: 0AE6E70E
	v_mul_f32_dpp v112, v50, v112 row_newbcast:8 row_mask:0xf bank_mask:0xf// 0000000053C4: 0AE0E0FA FF015832
	v_mul_f32_dpp v113, v50, v113 row_newbcast:9 row_mask:0xf bank_mask:0xf// 0000000053CC: 0AE2E2FA FF015932
	v_mul_f32_dpp v114, v50, v114 row_newbcast:10 row_mask:0xf bank_mask:0xf// 0000000053D4: 0AE4E4FA FF015A32
	v_mul_f32_dpp v115, v50, v115 row_newbcast:11 row_mask:0xf bank_mask:0xf// 0000000053DC: 0AE6E6FA FF015B32
	v_cvt_f32_i32_e32 v116, v116                               // 0000000053E4: 7EE80B74
	v_cvt_f32_i32_e32 v117, v117                               // 0000000053E8: 7EEA0B75
	v_cvt_f32_i32_e32 v118, v118                               // 0000000053EC: 7EEC0B76
	v_cvt_f32_i32_e32 v119, v119                               // 0000000053F0: 7EEE0B77
	v_mul_f32_e32 v116, v15, v116                              // 0000000053F4: 0AE8E90F
	v_mul_f32_e32 v117, v15, v117                              // 0000000053F8: 0AEAEB0F
	v_mul_f32_e32 v118, v15, v118                              // 0000000053FC: 0AECED0F
	v_mul_f32_e32 v119, v15, v119                              // 000000005400: 0AEEEF0F
	v_mul_f32_dpp v116, v50, v116 row_newbcast:8 row_mask:0xf bank_mask:0xf// 000000005404: 0AE8E8FA FF015832
	v_mul_f32_dpp v117, v50, v117 row_newbcast:9 row_mask:0xf bank_mask:0xf// 00000000540C: 0AEAEAFA FF015932
	v_mul_f32_dpp v118, v50, v118 row_newbcast:10 row_mask:0xf bank_mask:0xf// 000000005414: 0AECECFA FF015A32
	v_mul_f32_dpp v119, v50, v119 row_newbcast:11 row_mask:0xf bank_mask:0xf// 00000000541C: 0AEEEEFA FF015B32
	s_waitcnt vmcnt(24)                                        // 000000005424: BF8C4F78
	buffer_load_dwordx4 a[0:3], v41, s[12:15], 0 offen         // 000000005428: E05C1000 80830029
	v_mul_f32_e32 v52, v128, v128                              // 000000005430: 0A690180
	v_mul_f32_e32 v53, v129, v129                              // 000000005434: 0A6B0381
	v_mul_f32_e32 v54, v130, v130                              // 000000005438: 0A6D0582
	v_mul_f32_e32 v55, v131, v131                              // 00000000543C: 0A6F0783
	v_fma_f32 v52, v52, s77, v1                                // 000000005440: D1CB0034 04049B34
	v_fma_f32 v53, v53, s77, v1                                // 000000005448: D1CB0035 04049B35
	v_fma_f32 v54, v54, s77, v1                                // 000000005450: D1CB0036 04049B36
	v_fma_f32 v55, v55, s77, v1                                // 000000005458: D1CB0037 04049B37
	v_mul_f32_e32 v52, v52, v128                               // 000000005460: 0A690134
	v_mul_f32_e32 v53, v53, v129                               // 000000005464: 0A6B0335
	v_mul_f32_e32 v54, v54, v130                               // 000000005468: 0A6D0536
	v_mul_f32_e32 v55, v55, v131                               // 00000000546C: 0A6F0737
	v_mul_f32_e64 v52, v52, s6                                 // 000000005470: D1050034 00000D34
	v_mul_f32_e64 v53, v53, s6                                 // 000000005478: D1050035 00000D35
	v_mul_f32_e64 v54, v54, s6                                 // 000000005480: D1050036 00000D36
	v_mul_f32_e64 v55, v55, s6                                 // 000000005488: D1050037 00000D37
	v_exp_f32_e32 v52, v52                                     // 000000005490: 7E684134
	v_exp_f32_e32 v53, v53                                     // 000000005494: 7E6A4135
	v_exp_f32_e32 v54, v54                                     // 000000005498: 7E6C4136
	v_exp_f32_e32 v55, v55                                     // 00000000549C: 7E6E4137
	buffer_load_dwordx4 a[4:7], v42, s[12:15], 0 offen         // 0000000054A0: E05C1000 8083042A
	v_add_f32_e64 v52, v52, 1.0                                // 0000000054A8: D1010034 0001E534
	v_add_f32_e64 v53, v53, 1.0                                // 0000000054B0: D1010035 0001E535
	v_add_f32_e64 v54, v54, 1.0                                // 0000000054B8: D1010036 0001E536
	v_add_f32_e64 v55, v55, 1.0                                // 0000000054C0: D1010037 0001E537
	v_rcp_f32_e32 v52, v52                                     // 0000000054C8: 7E684534
	v_rcp_f32_e32 v53, v53                                     // 0000000054CC: 7E6A4535
	v_rcp_f32_e32 v54, v54                                     // 0000000054D0: 7E6C4536
	v_rcp_f32_e32 v55, v55                                     // 0000000054D4: 7E6E4537
	v_mul_f32_e32 v128, v128, v52                              // 0000000054D8: 0B006980
	v_mul_f32_e32 v129, v129, v53                              // 0000000054DC: 0B026B81
	v_mul_f32_e32 v130, v130, v54                              // 0000000054E0: 0B046D82
	v_mul_f32_e32 v131, v131, v55                              // 0000000054E4: 0B066F83
	v_mul_f32_e32 v128, v128, v64                              // 0000000054E8: 0B008180
	v_mul_f32_e32 v129, v129, v65                              // 0000000054EC: 0B028381
	v_mul_f32_e32 v130, v130, v66                              // 0000000054F0: 0B048582
	v_mul_f32_e32 v131, v131, v67                              // 0000000054F4: 0B068783
	buffer_load_dwordx4 a[8:11], v43, s[12:15], 0 offen        // 0000000054F8: E05C1000 8083082B
	v_mul_f32_e32 v52, v132, v132                              // 000000005500: 0A690984
	v_mul_f32_e32 v53, v133, v133                              // 000000005504: 0A6B0B85
	v_mul_f32_e32 v54, v134, v134                              // 000000005508: 0A6D0D86
	v_mul_f32_e32 v55, v135, v135                              // 00000000550C: 0A6F0F87
	v_fma_f32 v52, v52, s77, v1                                // 000000005510: D1CB0034 04049B34
	v_fma_f32 v53, v53, s77, v1                                // 000000005518: D1CB0035 04049B35
	v_fma_f32 v54, v54, s77, v1                                // 000000005520: D1CB0036 04049B36
	v_fma_f32 v55, v55, s77, v1                                // 000000005528: D1CB0037 04049B37
	v_mul_f32_e32 v52, v52, v132                               // 000000005530: 0A690934
	v_mul_f32_e32 v53, v53, v133                               // 000000005534: 0A6B0B35
	v_mul_f32_e32 v54, v54, v134                               // 000000005538: 0A6D0D36
	v_mul_f32_e32 v55, v55, v135                               // 00000000553C: 0A6F0F37
	v_mul_f32_e64 v52, v52, s6                                 // 000000005540: D1050034 00000D34
	v_mul_f32_e64 v53, v53, s6                                 // 000000005548: D1050035 00000D35
	v_mul_f32_e64 v54, v54, s6                                 // 000000005550: D1050036 00000D36
	v_mul_f32_e64 v55, v55, s6                                 // 000000005558: D1050037 00000D37
	v_exp_f32_e32 v52, v52                                     // 000000005560: 7E684134
	v_exp_f32_e32 v53, v53                                     // 000000005564: 7E6A4135
	v_exp_f32_e32 v54, v54                                     // 000000005568: 7E6C4136
	v_exp_f32_e32 v55, v55                                     // 00000000556C: 7E6E4137
	buffer_load_dwordx4 a[12:15], v44, s[12:15], 0 offen       // 000000005570: E05C1000 80830C2C
	s_add_u32 s12, s78, s12                                    // 000000005578: 800C0C4E
	s_addc_u32 s13, 0, s13                                     // 00000000557C: 820D0D80
	v_add_f32_e64 v52, v52, 1.0                                // 000000005580: D1010034 0001E534
	v_add_f32_e64 v53, v53, 1.0                                // 000000005588: D1010035 0001E535
	v_add_f32_e64 v54, v54, 1.0                                // 000000005590: D1010036 0001E536
	v_add_f32_e64 v55, v55, 1.0                                // 000000005598: D1010037 0001E537
	v_rcp_f32_e32 v52, v52                                     // 0000000055A0: 7E684534
	v_rcp_f32_e32 v53, v53                                     // 0000000055A4: 7E6A4535
	v_rcp_f32_e32 v54, v54                                     // 0000000055A8: 7E6C4536
	v_rcp_f32_e32 v55, v55                                     // 0000000055AC: 7E6E4537
	v_mul_f32_e32 v132, v132, v52                              // 0000000055B0: 0B086984
	v_mul_f32_e32 v133, v133, v53                              // 0000000055B4: 0B0A6B85
	v_mul_f32_e32 v134, v134, v54                              // 0000000055B8: 0B0C6D86
	v_mul_f32_e32 v135, v135, v55                              // 0000000055BC: 0B0E6F87
	v_mul_f32_e32 v132, v132, v68                              // 0000000055C0: 0B088984
	v_mul_f32_e32 v133, v133, v69                              // 0000000055C4: 0B0A8B85
	v_mul_f32_e32 v134, v134, v70                              // 0000000055C8: 0B0C8D86
	v_mul_f32_e32 v135, v135, v71                              // 0000000055CC: 0B0E8F87
	s_waitcnt vmcnt(24)                                        // 0000000055D0: BF8C4F78
	buffer_load_dwordx4 a[16:19], v41, s[12:15], 0 offen       // 0000000055D4: E05C1000 80831029
	v_mul_f32_e32 v52, v136, v136                              // 0000000055DC: 0A691188
	v_mul_f32_e32 v53, v137, v137                              // 0000000055E0: 0A6B1389
	v_mul_f32_e32 v54, v138, v138                              // 0000000055E4: 0A6D158A
	v_mul_f32_e32 v55, v139, v139                              // 0000000055E8: 0A6F178B
	v_fma_f32 v52, v52, s77, v1                                // 0000000055EC: D1CB0034 04049B34
	v_fma_f32 v53, v53, s77, v1                                // 0000000055F4: D1CB0035 04049B35
	v_fma_f32 v54, v54, s77, v1                                // 0000000055FC: D1CB0036 04049B36
	v_fma_f32 v55, v55, s77, v1                                // 000000005604: D1CB0037 04049B37
	v_mul_f32_e32 v52, v52, v136                               // 00000000560C: 0A691134
	v_mul_f32_e32 v53, v53, v137                               // 000000005610: 0A6B1335
	v_mul_f32_e32 v54, v54, v138                               // 000000005614: 0A6D1536
	v_mul_f32_e32 v55, v55, v139                               // 000000005618: 0A6F1737
	v_mul_f32_e64 v52, v52, s6                                 // 00000000561C: D1050034 00000D34
	v_mul_f32_e64 v53, v53, s6                                 // 000000005624: D1050035 00000D35
	v_mul_f32_e64 v54, v54, s6                                 // 00000000562C: D1050036 00000D36
	v_mul_f32_e64 v55, v55, s6                                 // 000000005634: D1050037 00000D37
	v_exp_f32_e32 v52, v52                                     // 00000000563C: 7E684134
	v_exp_f32_e32 v53, v53                                     // 000000005640: 7E6A4135
	v_exp_f32_e32 v54, v54                                     // 000000005644: 7E6C4136
	v_exp_f32_e32 v55, v55                                     // 000000005648: 7E6E4137
	buffer_load_dwordx4 a[20:23], v42, s[12:15], 0 offen       // 00000000564C: E05C1000 8083142A
	v_add_f32_e64 v52, v52, 1.0                                // 000000005654: D1010034 0001E534
	v_add_f32_e64 v53, v53, 1.0                                // 00000000565C: D1010035 0001E535
	v_add_f32_e64 v54, v54, 1.0                                // 000000005664: D1010036 0001E536
	v_add_f32_e64 v55, v55, 1.0                                // 00000000566C: D1010037 0001E537
	v_rcp_f32_e32 v52, v52                                     // 000000005674: 7E684534
	v_rcp_f32_e32 v53, v53                                     // 000000005678: 7E6A4535
	v_rcp_f32_e32 v54, v54                                     // 00000000567C: 7E6C4536
	v_rcp_f32_e32 v55, v55                                     // 000000005680: 7E6E4537
	v_mul_f32_e32 v136, v136, v52                              // 000000005684: 0B106988
	v_mul_f32_e32 v137, v137, v53                              // 000000005688: 0B126B89
	v_mul_f32_e32 v138, v138, v54                              // 00000000568C: 0B146D8A
	v_mul_f32_e32 v139, v139, v55                              // 000000005690: 0B166F8B
	v_mul_f32_e32 v136, v136, v72                              // 000000005694: 0B109188
	v_mul_f32_e32 v137, v137, v73                              // 000000005698: 0B129389
	v_mul_f32_e32 v138, v138, v74                              // 00000000569C: 0B14958A
	v_mul_f32_e32 v139, v139, v75                              // 0000000056A0: 0B16978B
	buffer_load_dwordx4 a[24:27], v43, s[12:15], 0 offen       // 0000000056A4: E05C1000 8083182B
	v_mul_f32_e32 v52, v140, v140                              // 0000000056AC: 0A69198C
	v_mul_f32_e32 v53, v141, v141                              // 0000000056B0: 0A6B1B8D
	v_mul_f32_e32 v54, v142, v142                              // 0000000056B4: 0A6D1D8E
	v_mul_f32_e32 v55, v143, v143                              // 0000000056B8: 0A6F1F8F
	v_fma_f32 v52, v52, s77, v1                                // 0000000056BC: D1CB0034 04049B34
	v_fma_f32 v53, v53, s77, v1                                // 0000000056C4: D1CB0035 04049B35
	v_fma_f32 v54, v54, s77, v1                                // 0000000056CC: D1CB0036 04049B36
	v_fma_f32 v55, v55, s77, v1                                // 0000000056D4: D1CB0037 04049B37
	v_mul_f32_e32 v52, v52, v140                               // 0000000056DC: 0A691934
	v_mul_f32_e32 v53, v53, v141                               // 0000000056E0: 0A6B1B35
	v_mul_f32_e32 v54, v54, v142                               // 0000000056E4: 0A6D1D36
	v_mul_f32_e32 v55, v55, v143                               // 0000000056E8: 0A6F1F37
	v_mul_f32_e64 v52, v52, s6                                 // 0000000056EC: D1050034 00000D34
	v_mul_f32_e64 v53, v53, s6                                 // 0000000056F4: D1050035 00000D35
	v_mul_f32_e64 v54, v54, s6                                 // 0000000056FC: D1050036 00000D36
	v_mul_f32_e64 v55, v55, s6                                 // 000000005704: D1050037 00000D37
	v_exp_f32_e32 v52, v52                                     // 00000000570C: 7E684134
	v_exp_f32_e32 v53, v53                                     // 000000005710: 7E6A4135
	v_exp_f32_e32 v54, v54                                     // 000000005714: 7E6C4136
	v_exp_f32_e32 v55, v55                                     // 000000005718: 7E6E4137
	buffer_load_dwordx4 a[28:31], v44, s[12:15], 0 offen       // 00000000571C: E05C1000 80831C2C
	s_add_u32 s12, s78, s12                                    // 000000005724: 800C0C4E
	s_addc_u32 s13, 0, s13                                     // 000000005728: 820D0D80
	v_add_f32_e64 v52, v52, 1.0                                // 00000000572C: D1010034 0001E534
	v_add_f32_e64 v53, v53, 1.0                                // 000000005734: D1010035 0001E535
	v_add_f32_e64 v54, v54, 1.0                                // 00000000573C: D1010036 0001E536
	v_add_f32_e64 v55, v55, 1.0                                // 000000005744: D1010037 0001E537
	v_rcp_f32_e32 v52, v52                                     // 00000000574C: 7E684534
	v_rcp_f32_e32 v53, v53                                     // 000000005750: 7E6A4535
	v_rcp_f32_e32 v54, v54                                     // 000000005754: 7E6C4536
	v_rcp_f32_e32 v55, v55                                     // 000000005758: 7E6E4537
	v_mul_f32_e32 v140, v140, v52                              // 00000000575C: 0B18698C
	v_mul_f32_e32 v141, v141, v53                              // 000000005760: 0B1A6B8D
	v_mul_f32_e32 v142, v142, v54                              // 000000005764: 0B1C6D8E
	v_mul_f32_e32 v143, v143, v55                              // 000000005768: 0B1E6F8F
	v_mul_f32_e32 v140, v140, v76                              // 00000000576C: 0B18998C
	v_mul_f32_e32 v141, v141, v77                              // 000000005770: 0B1A9B8D
	v_mul_f32_e32 v142, v142, v78                              // 000000005774: 0B1C9D8E
	v_mul_f32_e32 v143, v143, v79                              // 000000005778: 0B1E9F8F
	s_waitcnt vmcnt(24)                                        // 00000000577C: BF8C4F78
	buffer_load_dwordx4 a[32:35], v41, s[12:15], 0 offen       // 000000005780: E05C1000 80832029
	v_mul_f32_e32 v52, v144, v144                              // 000000005788: 0A692190
	v_mul_f32_e32 v53, v145, v145                              // 00000000578C: 0A6B2391
	v_mul_f32_e32 v54, v146, v146                              // 000000005790: 0A6D2592
	v_mul_f32_e32 v55, v147, v147                              // 000000005794: 0A6F2793
	v_fma_f32 v52, v52, s77, v1                                // 000000005798: D1CB0034 04049B34
	v_fma_f32 v53, v53, s77, v1                                // 0000000057A0: D1CB0035 04049B35
	v_fma_f32 v54, v54, s77, v1                                // 0000000057A8: D1CB0036 04049B36
	v_fma_f32 v55, v55, s77, v1                                // 0000000057B0: D1CB0037 04049B37
	v_mul_f32_e32 v52, v52, v144                               // 0000000057B8: 0A692134
	v_mul_f32_e32 v53, v53, v145                               // 0000000057BC: 0A6B2335
	v_mul_f32_e32 v54, v54, v146                               // 0000000057C0: 0A6D2536
	v_mul_f32_e32 v55, v55, v147                               // 0000000057C4: 0A6F2737
	v_mul_f32_e64 v52, v52, s6                                 // 0000000057C8: D1050034 00000D34
	v_mul_f32_e64 v53, v53, s6                                 // 0000000057D0: D1050035 00000D35
	v_mul_f32_e64 v54, v54, s6                                 // 0000000057D8: D1050036 00000D36
	v_mul_f32_e64 v55, v55, s6                                 // 0000000057E0: D1050037 00000D37
	v_exp_f32_e32 v52, v52                                     // 0000000057E8: 7E684134
	v_exp_f32_e32 v53, v53                                     // 0000000057EC: 7E6A4135
	v_exp_f32_e32 v54, v54                                     // 0000000057F0: 7E6C4136
	v_exp_f32_e32 v55, v55                                     // 0000000057F4: 7E6E4137
	buffer_load_dwordx4 a[36:39], v42, s[12:15], 0 offen       // 0000000057F8: E05C1000 8083242A
	v_add_f32_e64 v52, v52, 1.0                                // 000000005800: D1010034 0001E534
	v_add_f32_e64 v53, v53, 1.0                                // 000000005808: D1010035 0001E535
	v_add_f32_e64 v54, v54, 1.0                                // 000000005810: D1010036 0001E536
	v_add_f32_e64 v55, v55, 1.0                                // 000000005818: D1010037 0001E537
	v_rcp_f32_e32 v52, v52                                     // 000000005820: 7E684534
	v_rcp_f32_e32 v53, v53                                     // 000000005824: 7E6A4535
	v_rcp_f32_e32 v54, v54                                     // 000000005828: 7E6C4536
	v_rcp_f32_e32 v55, v55                                     // 00000000582C: 7E6E4537
	v_mul_f32_e32 v144, v144, v52                              // 000000005830: 0B206990
	v_mul_f32_e32 v145, v145, v53                              // 000000005834: 0B226B91
	v_mul_f32_e32 v146, v146, v54                              // 000000005838: 0B246D92
	v_mul_f32_e32 v147, v147, v55                              // 00000000583C: 0B266F93
	v_mul_f32_e32 v144, v144, v80                              // 000000005840: 0B20A190
	v_mul_f32_e32 v145, v145, v81                              // 000000005844: 0B22A391
	v_mul_f32_e32 v146, v146, v82                              // 000000005848: 0B24A592
	v_mul_f32_e32 v147, v147, v83                              // 00000000584C: 0B26A793
	buffer_load_dwordx4 a[40:43], v43, s[12:15], 0 offen       // 000000005850: E05C1000 8083282B
	v_mul_f32_e32 v52, v148, v148                              // 000000005858: 0A692994
	v_mul_f32_e32 v53, v149, v149                              // 00000000585C: 0A6B2B95
	v_mul_f32_e32 v54, v150, v150                              // 000000005860: 0A6D2D96
	v_mul_f32_e32 v55, v151, v151                              // 000000005864: 0A6F2F97
	v_fma_f32 v52, v52, s77, v1                                // 000000005868: D1CB0034 04049B34
	v_fma_f32 v53, v53, s77, v1                                // 000000005870: D1CB0035 04049B35
	v_fma_f32 v54, v54, s77, v1                                // 000000005878: D1CB0036 04049B36
	v_fma_f32 v55, v55, s77, v1                                // 000000005880: D1CB0037 04049B37
	v_mul_f32_e32 v52, v52, v148                               // 000000005888: 0A692934
	v_mul_f32_e32 v53, v53, v149                               // 00000000588C: 0A6B2B35
	v_mul_f32_e32 v54, v54, v150                               // 000000005890: 0A6D2D36
	v_mul_f32_e32 v55, v55, v151                               // 000000005894: 0A6F2F37
	v_mul_f32_e64 v52, v52, s6                                 // 000000005898: D1050034 00000D34
	v_mul_f32_e64 v53, v53, s6                                 // 0000000058A0: D1050035 00000D35
	v_mul_f32_e64 v54, v54, s6                                 // 0000000058A8: D1050036 00000D36
	v_mul_f32_e64 v55, v55, s6                                 // 0000000058B0: D1050037 00000D37
	v_exp_f32_e32 v52, v52                                     // 0000000058B8: 7E684134
	v_exp_f32_e32 v53, v53                                     // 0000000058BC: 7E6A4135
	v_exp_f32_e32 v54, v54                                     // 0000000058C0: 7E6C4136
	v_exp_f32_e32 v55, v55                                     // 0000000058C4: 7E6E4137
	buffer_load_dwordx4 a[44:47], v44, s[12:15], 0 offen       // 0000000058C8: E05C1000 80832C2C
	s_add_u32 s12, s78, s12                                    // 0000000058D0: 800C0C4E
	s_addc_u32 s13, 0, s13                                     // 0000000058D4: 820D0D80
	v_add_f32_e64 v52, v52, 1.0                                // 0000000058D8: D1010034 0001E534
	v_add_f32_e64 v53, v53, 1.0                                // 0000000058E0: D1010035 0001E535
	v_add_f32_e64 v54, v54, 1.0                                // 0000000058E8: D1010036 0001E536
	v_add_f32_e64 v55, v55, 1.0                                // 0000000058F0: D1010037 0001E537
	v_rcp_f32_e32 v52, v52                                     // 0000000058F8: 7E684534
	v_rcp_f32_e32 v53, v53                                     // 0000000058FC: 7E6A4535
	v_rcp_f32_e32 v54, v54                                     // 000000005900: 7E6C4536
	v_rcp_f32_e32 v55, v55                                     // 000000005904: 7E6E4537
	v_mul_f32_e32 v148, v148, v52                              // 000000005908: 0B286994
	v_mul_f32_e32 v149, v149, v53                              // 00000000590C: 0B2A6B95
	v_mul_f32_e32 v150, v150, v54                              // 000000005910: 0B2C6D96
	v_mul_f32_e32 v151, v151, v55                              // 000000005914: 0B2E6F97
	v_mul_f32_e32 v148, v148, v84                              // 000000005918: 0B28A994
	v_mul_f32_e32 v149, v149, v85                              // 00000000591C: 0B2AAB95
	v_mul_f32_e32 v150, v150, v86                              // 000000005920: 0B2CAD96
	v_mul_f32_e32 v151, v151, v87                              // 000000005924: 0B2EAF97
	s_waitcnt vmcnt(24)                                        // 000000005928: BF8C4F78
	buffer_load_dwordx4 a[48:51], v41, s[12:15], 0 offen       // 00000000592C: E05C1000 80833029
	v_mul_f32_e32 v52, v152, v152                              // 000000005934: 0A693198
	v_mul_f32_e32 v53, v153, v153                              // 000000005938: 0A6B3399
	v_mul_f32_e32 v54, v154, v154                              // 00000000593C: 0A6D359A
	v_mul_f32_e32 v55, v155, v155                              // 000000005940: 0A6F379B
	v_fma_f32 v52, v52, s77, v1                                // 000000005944: D1CB0034 04049B34
	v_fma_f32 v53, v53, s77, v1                                // 00000000594C: D1CB0035 04049B35
	v_fma_f32 v54, v54, s77, v1                                // 000000005954: D1CB0036 04049B36
	v_fma_f32 v55, v55, s77, v1                                // 00000000595C: D1CB0037 04049B37
	v_mul_f32_e32 v52, v52, v152                               // 000000005964: 0A693134
	v_mul_f32_e32 v53, v53, v153                               // 000000005968: 0A6B3335
	v_mul_f32_e32 v54, v54, v154                               // 00000000596C: 0A6D3536
	v_mul_f32_e32 v55, v55, v155                               // 000000005970: 0A6F3737
	v_mul_f32_e64 v52, v52, s6                                 // 000000005974: D1050034 00000D34
	v_mul_f32_e64 v53, v53, s6                                 // 00000000597C: D1050035 00000D35
	v_mul_f32_e64 v54, v54, s6                                 // 000000005984: D1050036 00000D36
	v_mul_f32_e64 v55, v55, s6                                 // 00000000598C: D1050037 00000D37
	v_exp_f32_e32 v52, v52                                     // 000000005994: 7E684134
	v_exp_f32_e32 v53, v53                                     // 000000005998: 7E6A4135
	v_exp_f32_e32 v54, v54                                     // 00000000599C: 7E6C4136
	v_exp_f32_e32 v55, v55                                     // 0000000059A0: 7E6E4137
	buffer_load_dwordx4 a[52:55], v42, s[12:15], 0 offen       // 0000000059A4: E05C1000 8083342A
	v_add_f32_e64 v52, v52, 1.0                                // 0000000059AC: D1010034 0001E534
	v_add_f32_e64 v53, v53, 1.0                                // 0000000059B4: D1010035 0001E535
	v_add_f32_e64 v54, v54, 1.0                                // 0000000059BC: D1010036 0001E536
	v_add_f32_e64 v55, v55, 1.0                                // 0000000059C4: D1010037 0001E537
	v_rcp_f32_e32 v52, v52                                     // 0000000059CC: 7E684534
	v_rcp_f32_e32 v53, v53                                     // 0000000059D0: 7E6A4535
	v_rcp_f32_e32 v54, v54                                     // 0000000059D4: 7E6C4536
	v_rcp_f32_e32 v55, v55                                     // 0000000059D8: 7E6E4537
	v_mul_f32_e32 v152, v152, v52                              // 0000000059DC: 0B306998
	v_mul_f32_e32 v153, v153, v53                              // 0000000059E0: 0B326B99
	v_mul_f32_e32 v154, v154, v54                              // 0000000059E4: 0B346D9A
	v_mul_f32_e32 v155, v155, v55                              // 0000000059E8: 0B366F9B
	v_mul_f32_e32 v152, v152, v88                              // 0000000059EC: 0B30B198
	v_mul_f32_e32 v153, v153, v89                              // 0000000059F0: 0B32B399
	v_mul_f32_e32 v154, v154, v90                              // 0000000059F4: 0B34B59A
	v_mul_f32_e32 v155, v155, v91                              // 0000000059F8: 0B36B79B
	buffer_load_dwordx4 a[56:59], v43, s[12:15], 0 offen       // 0000000059FC: E05C1000 8083382B
	v_mul_f32_e32 v52, v156, v156                              // 000000005A04: 0A69399C
	v_mul_f32_e32 v53, v157, v157                              // 000000005A08: 0A6B3B9D
	v_mul_f32_e32 v54, v158, v158                              // 000000005A0C: 0A6D3D9E
	v_mul_f32_e32 v55, v159, v159                              // 000000005A10: 0A6F3F9F
	v_fma_f32 v52, v52, s77, v1                                // 000000005A14: D1CB0034 04049B34
	v_fma_f32 v53, v53, s77, v1                                // 000000005A1C: D1CB0035 04049B35
	v_fma_f32 v54, v54, s77, v1                                // 000000005A24: D1CB0036 04049B36
	v_fma_f32 v55, v55, s77, v1                                // 000000005A2C: D1CB0037 04049B37
	v_mul_f32_e32 v52, v52, v156                               // 000000005A34: 0A693934
	v_mul_f32_e32 v53, v53, v157                               // 000000005A38: 0A6B3B35
	v_mul_f32_e32 v54, v54, v158                               // 000000005A3C: 0A6D3D36
	v_mul_f32_e32 v55, v55, v159                               // 000000005A40: 0A6F3F37
	v_mul_f32_e64 v52, v52, s6                                 // 000000005A44: D1050034 00000D34
	v_mul_f32_e64 v53, v53, s6                                 // 000000005A4C: D1050035 00000D35
	v_mul_f32_e64 v54, v54, s6                                 // 000000005A54: D1050036 00000D36
	v_mul_f32_e64 v55, v55, s6                                 // 000000005A5C: D1050037 00000D37
	v_exp_f32_e32 v52, v52                                     // 000000005A64: 7E684134
	v_exp_f32_e32 v53, v53                                     // 000000005A68: 7E6A4135
	v_exp_f32_e32 v54, v54                                     // 000000005A6C: 7E6C4136
	v_exp_f32_e32 v55, v55                                     // 000000005A70: 7E6E4137
	buffer_load_dwordx4 a[60:63], v44, s[12:15], 0 offen       // 000000005A74: E05C1000 80833C2C
	s_add_u32 s12, s78, s12                                    // 000000005A7C: 800C0C4E
	s_addc_u32 s13, 0, s13                                     // 000000005A80: 820D0D80
	v_add_f32_e64 v52, v52, 1.0                                // 000000005A84: D1010034 0001E534
	v_add_f32_e64 v53, v53, 1.0                                // 000000005A8C: D1010035 0001E535
	v_add_f32_e64 v54, v54, 1.0                                // 000000005A94: D1010036 0001E536
	v_add_f32_e64 v55, v55, 1.0                                // 000000005A9C: D1010037 0001E537
	v_rcp_f32_e32 v52, v52                                     // 000000005AA4: 7E684534
	v_rcp_f32_e32 v53, v53                                     // 000000005AA8: 7E6A4535
	v_rcp_f32_e32 v54, v54                                     // 000000005AAC: 7E6C4536
	v_rcp_f32_e32 v55, v55                                     // 000000005AB0: 7E6E4537
	v_mul_f32_e32 v156, v156, v52                              // 000000005AB4: 0B38699C
	v_mul_f32_e32 v157, v157, v53                              // 000000005AB8: 0B3A6B9D
	v_mul_f32_e32 v158, v158, v54                              // 000000005ABC: 0B3C6D9E
	v_mul_f32_e32 v159, v159, v55                              // 000000005AC0: 0B3E6F9F
	v_mul_f32_e32 v156, v156, v92                              // 000000005AC4: 0B38B99C
	v_mul_f32_e32 v157, v157, v93                              // 000000005AC8: 0B3ABB9D
	v_mul_f32_e32 v158, v158, v94                              // 000000005ACC: 0B3CBD9E
	v_mul_f32_e32 v159, v159, v95                              // 000000005AD0: 0B3EBF9F
	s_waitcnt vmcnt(24)                                        // 000000005AD4: BF8C4F78
	buffer_load_dwordx4 a[64:67], v41, s[12:15], 0 offen       // 000000005AD8: E05C1000 80834029
	v_mul_f32_e32 v52, v160, v160                              // 000000005AE0: 0A6941A0
	v_mul_f32_e32 v53, v161, v161                              // 000000005AE4: 0A6B43A1
	v_mul_f32_e32 v54, v162, v162                              // 000000005AE8: 0A6D45A2
	v_mul_f32_e32 v55, v163, v163                              // 000000005AEC: 0A6F47A3
	v_fma_f32 v52, v52, s77, v1                                // 000000005AF0: D1CB0034 04049B34
	v_fma_f32 v53, v53, s77, v1                                // 000000005AF8: D1CB0035 04049B35
	v_fma_f32 v54, v54, s77, v1                                // 000000005B00: D1CB0036 04049B36
	v_fma_f32 v55, v55, s77, v1                                // 000000005B08: D1CB0037 04049B37
	v_mul_f32_e32 v52, v52, v160                               // 000000005B10: 0A694134
	v_mul_f32_e32 v53, v53, v161                               // 000000005B14: 0A6B4335
	v_mul_f32_e32 v54, v54, v162                               // 000000005B18: 0A6D4536
	v_mul_f32_e32 v55, v55, v163                               // 000000005B1C: 0A6F4737
	v_mul_f32_e64 v52, v52, s6                                 // 000000005B20: D1050034 00000D34
	v_mul_f32_e64 v53, v53, s6                                 // 000000005B28: D1050035 00000D35
	v_mul_f32_e64 v54, v54, s6                                 // 000000005B30: D1050036 00000D36
	v_mul_f32_e64 v55, v55, s6                                 // 000000005B38: D1050037 00000D37
	v_exp_f32_e32 v52, v52                                     // 000000005B40: 7E684134
	v_exp_f32_e32 v53, v53                                     // 000000005B44: 7E6A4135
	v_exp_f32_e32 v54, v54                                     // 000000005B48: 7E6C4136
	v_exp_f32_e32 v55, v55                                     // 000000005B4C: 7E6E4137
	buffer_load_dwordx4 a[68:71], v42, s[12:15], 0 offen       // 000000005B50: E05C1000 8083442A
	v_add_f32_e64 v52, v52, 1.0                                // 000000005B58: D1010034 0001E534
	v_add_f32_e64 v53, v53, 1.0                                // 000000005B60: D1010035 0001E535
	v_add_f32_e64 v54, v54, 1.0                                // 000000005B68: D1010036 0001E536
	v_add_f32_e64 v55, v55, 1.0                                // 000000005B70: D1010037 0001E537
	v_rcp_f32_e32 v52, v52                                     // 000000005B78: 7E684534
	v_rcp_f32_e32 v53, v53                                     // 000000005B7C: 7E6A4535
	v_rcp_f32_e32 v54, v54                                     // 000000005B80: 7E6C4536
	v_rcp_f32_e32 v55, v55                                     // 000000005B84: 7E6E4537
	v_mul_f32_e32 v160, v160, v52                              // 000000005B88: 0B4069A0
	v_mul_f32_e32 v161, v161, v53                              // 000000005B8C: 0B426BA1
	v_mul_f32_e32 v162, v162, v54                              // 000000005B90: 0B446DA2
	v_mul_f32_e32 v163, v163, v55                              // 000000005B94: 0B466FA3
	v_mul_f32_e32 v160, v160, v96                              // 000000005B98: 0B40C1A0
	v_mul_f32_e32 v161, v161, v97                              // 000000005B9C: 0B42C3A1
	v_mul_f32_e32 v162, v162, v98                              // 000000005BA0: 0B44C5A2
	v_mul_f32_e32 v163, v163, v99                              // 000000005BA4: 0B46C7A3
	buffer_load_dwordx4 a[72:75], v43, s[12:15], 0 offen       // 000000005BA8: E05C1000 8083482B
	v_mul_f32_e32 v52, v164, v164                              // 000000005BB0: 0A6949A4
	v_mul_f32_e32 v53, v165, v165                              // 000000005BB4: 0A6B4BA5
	v_mul_f32_e32 v54, v166, v166                              // 000000005BB8: 0A6D4DA6
	v_mul_f32_e32 v55, v167, v167                              // 000000005BBC: 0A6F4FA7
	v_fma_f32 v52, v52, s77, v1                                // 000000005BC0: D1CB0034 04049B34
	v_fma_f32 v53, v53, s77, v1                                // 000000005BC8: D1CB0035 04049B35
	v_fma_f32 v54, v54, s77, v1                                // 000000005BD0: D1CB0036 04049B36
	v_fma_f32 v55, v55, s77, v1                                // 000000005BD8: D1CB0037 04049B37
	v_mul_f32_e32 v52, v52, v164                               // 000000005BE0: 0A694934
	v_mul_f32_e32 v53, v53, v165                               // 000000005BE4: 0A6B4B35
	v_mul_f32_e32 v54, v54, v166                               // 000000005BE8: 0A6D4D36
	v_mul_f32_e32 v55, v55, v167                               // 000000005BEC: 0A6F4F37
	v_mul_f32_e64 v52, v52, s6                                 // 000000005BF0: D1050034 00000D34
	v_mul_f32_e64 v53, v53, s6                                 // 000000005BF8: D1050035 00000D35
	v_mul_f32_e64 v54, v54, s6                                 // 000000005C00: D1050036 00000D36
	v_mul_f32_e64 v55, v55, s6                                 // 000000005C08: D1050037 00000D37
	v_exp_f32_e32 v52, v52                                     // 000000005C10: 7E684134
	v_exp_f32_e32 v53, v53                                     // 000000005C14: 7E6A4135
	v_exp_f32_e32 v54, v54                                     // 000000005C18: 7E6C4136
	v_exp_f32_e32 v55, v55                                     // 000000005C1C: 7E6E4137
	buffer_load_dwordx4 a[76:79], v44, s[12:15], 0 offen       // 000000005C20: E05C1000 80834C2C
	s_add_u32 s12, s78, s12                                    // 000000005C28: 800C0C4E
	s_addc_u32 s13, 0, s13                                     // 000000005C2C: 820D0D80
	v_add_f32_e64 v52, v52, 1.0                                // 000000005C30: D1010034 0001E534
	v_add_f32_e64 v53, v53, 1.0                                // 000000005C38: D1010035 0001E535
	v_add_f32_e64 v54, v54, 1.0                                // 000000005C40: D1010036 0001E536
	v_add_f32_e64 v55, v55, 1.0                                // 000000005C48: D1010037 0001E537
	v_rcp_f32_e32 v52, v52                                     // 000000005C50: 7E684534
	v_rcp_f32_e32 v53, v53                                     // 000000005C54: 7E6A4535
	v_rcp_f32_e32 v54, v54                                     // 000000005C58: 7E6C4536
	v_rcp_f32_e32 v55, v55                                     // 000000005C5C: 7E6E4537
	v_mul_f32_e32 v164, v164, v52                              // 000000005C60: 0B4869A4
	v_mul_f32_e32 v165, v165, v53                              // 000000005C64: 0B4A6BA5
	v_mul_f32_e32 v166, v166, v54                              // 000000005C68: 0B4C6DA6
	v_mul_f32_e32 v167, v167, v55                              // 000000005C6C: 0B4E6FA7
	v_mul_f32_e32 v164, v164, v100                             // 000000005C70: 0B48C9A4
	v_mul_f32_e32 v165, v165, v101                             // 000000005C74: 0B4ACBA5
	v_mul_f32_e32 v166, v166, v102                             // 000000005C78: 0B4CCDA6
	v_mul_f32_e32 v167, v167, v103                             // 000000005C7C: 0B4ECFA7
	s_waitcnt vmcnt(24)                                        // 000000005C80: BF8C4F78
	buffer_load_dwordx4 a[80:83], v41, s[12:15], 0 offen       // 000000005C84: E05C1000 80835029
	v_mul_f32_e32 v52, v168, v168                              // 000000005C8C: 0A6951A8
	v_mul_f32_e32 v53, v169, v169                              // 000000005C90: 0A6B53A9
	v_mul_f32_e32 v54, v170, v170                              // 000000005C94: 0A6D55AA
	v_mul_f32_e32 v55, v171, v171                              // 000000005C98: 0A6F57AB
	v_fma_f32 v52, v52, s77, v1                                // 000000005C9C: D1CB0034 04049B34
	v_fma_f32 v53, v53, s77, v1                                // 000000005CA4: D1CB0035 04049B35
	v_fma_f32 v54, v54, s77, v1                                // 000000005CAC: D1CB0036 04049B36
	v_fma_f32 v55, v55, s77, v1                                // 000000005CB4: D1CB0037 04049B37
	v_mul_f32_e32 v52, v52, v168                               // 000000005CBC: 0A695134
	v_mul_f32_e32 v53, v53, v169                               // 000000005CC0: 0A6B5335
	v_mul_f32_e32 v54, v54, v170                               // 000000005CC4: 0A6D5536
	v_mul_f32_e32 v55, v55, v171                               // 000000005CC8: 0A6F5737
	v_mul_f32_e64 v52, v52, s6                                 // 000000005CCC: D1050034 00000D34
	v_mul_f32_e64 v53, v53, s6                                 // 000000005CD4: D1050035 00000D35
	v_mul_f32_e64 v54, v54, s6                                 // 000000005CDC: D1050036 00000D36
	v_mul_f32_e64 v55, v55, s6                                 // 000000005CE4: D1050037 00000D37
	v_exp_f32_e32 v52, v52                                     // 000000005CEC: 7E684134
	v_exp_f32_e32 v53, v53                                     // 000000005CF0: 7E6A4135
	v_exp_f32_e32 v54, v54                                     // 000000005CF4: 7E6C4136
	v_exp_f32_e32 v55, v55                                     // 000000005CF8: 7E6E4137
	buffer_load_dwordx4 a[84:87], v42, s[12:15], 0 offen       // 000000005CFC: E05C1000 8083542A
	v_add_f32_e64 v52, v52, 1.0                                // 000000005D04: D1010034 0001E534
	v_add_f32_e64 v53, v53, 1.0                                // 000000005D0C: D1010035 0001E535
	v_add_f32_e64 v54, v54, 1.0                                // 000000005D14: D1010036 0001E536
	v_add_f32_e64 v55, v55, 1.0                                // 000000005D1C: D1010037 0001E537
	v_rcp_f32_e32 v52, v52                                     // 000000005D24: 7E684534
	v_rcp_f32_e32 v53, v53                                     // 000000005D28: 7E6A4535
	v_rcp_f32_e32 v54, v54                                     // 000000005D2C: 7E6C4536
	v_rcp_f32_e32 v55, v55                                     // 000000005D30: 7E6E4537
	v_mul_f32_e32 v168, v168, v52                              // 000000005D34: 0B5069A8
	v_mul_f32_e32 v169, v169, v53                              // 000000005D38: 0B526BA9
	v_mul_f32_e32 v170, v170, v54                              // 000000005D3C: 0B546DAA
	v_mul_f32_e32 v171, v171, v55                              // 000000005D40: 0B566FAB
	v_mul_f32_e32 v168, v168, v104                             // 000000005D44: 0B50D1A8
	v_mul_f32_e32 v169, v169, v105                             // 000000005D48: 0B52D3A9
	v_mul_f32_e32 v170, v170, v106                             // 000000005D4C: 0B54D5AA
	v_mul_f32_e32 v171, v171, v107                             // 000000005D50: 0B56D7AB
	buffer_load_dwordx4 a[88:91], v43, s[12:15], 0 offen       // 000000005D54: E05C1000 8083582B
	v_mul_f32_e32 v52, v172, v172                              // 000000005D5C: 0A6959AC
	v_mul_f32_e32 v53, v173, v173                              // 000000005D60: 0A6B5BAD
	v_mul_f32_e32 v54, v174, v174                              // 000000005D64: 0A6D5DAE
	v_mul_f32_e32 v55, v175, v175                              // 000000005D68: 0A6F5FAF
	v_fma_f32 v52, v52, s77, v1                                // 000000005D6C: D1CB0034 04049B34
	v_fma_f32 v53, v53, s77, v1                                // 000000005D74: D1CB0035 04049B35
	v_fma_f32 v54, v54, s77, v1                                // 000000005D7C: D1CB0036 04049B36
	v_fma_f32 v55, v55, s77, v1                                // 000000005D84: D1CB0037 04049B37
	v_mul_f32_e32 v52, v52, v172                               // 000000005D8C: 0A695934
	v_mul_f32_e32 v53, v53, v173                               // 000000005D90: 0A6B5B35
	v_mul_f32_e32 v54, v54, v174                               // 000000005D94: 0A6D5D36
	v_mul_f32_e32 v55, v55, v175                               // 000000005D98: 0A6F5F37
	v_mul_f32_e64 v52, v52, s6                                 // 000000005D9C: D1050034 00000D34
	v_mul_f32_e64 v53, v53, s6                                 // 000000005DA4: D1050035 00000D35
	v_mul_f32_e64 v54, v54, s6                                 // 000000005DAC: D1050036 00000D36
	v_mul_f32_e64 v55, v55, s6                                 // 000000005DB4: D1050037 00000D37
	v_exp_f32_e32 v52, v52                                     // 000000005DBC: 7E684134
	v_exp_f32_e32 v53, v53                                     // 000000005DC0: 7E6A4135
	v_exp_f32_e32 v54, v54                                     // 000000005DC4: 7E6C4136
	v_exp_f32_e32 v55, v55                                     // 000000005DC8: 7E6E4137
	buffer_load_dwordx4 a[92:95], v44, s[12:15], 0 offen       // 000000005DCC: E05C1000 80835C2C
	s_add_u32 s12, s78, s12                                    // 000000005DD4: 800C0C4E
	s_addc_u32 s13, 0, s13                                     // 000000005DD8: 820D0D80
	v_add_f32_e64 v52, v52, 1.0                                // 000000005DDC: D1010034 0001E534
	v_add_f32_e64 v53, v53, 1.0                                // 000000005DE4: D1010035 0001E535
	v_add_f32_e64 v54, v54, 1.0                                // 000000005DEC: D1010036 0001E536
	v_add_f32_e64 v55, v55, 1.0                                // 000000005DF4: D1010037 0001E537
	v_rcp_f32_e32 v52, v52                                     // 000000005DFC: 7E684534
	v_rcp_f32_e32 v53, v53                                     // 000000005E00: 7E6A4535
	v_rcp_f32_e32 v54, v54                                     // 000000005E04: 7E6C4536
	v_rcp_f32_e32 v55, v55                                     // 000000005E08: 7E6E4537
	v_mul_f32_e32 v172, v172, v52                              // 000000005E0C: 0B5869AC
	v_mul_f32_e32 v173, v173, v53                              // 000000005E10: 0B5A6BAD
	v_mul_f32_e32 v174, v174, v54                              // 000000005E14: 0B5C6DAE
	v_mul_f32_e32 v175, v175, v55                              // 000000005E18: 0B5E6FAF
	v_mul_f32_e32 v172, v172, v108                             // 000000005E1C: 0B58D9AC
	v_mul_f32_e32 v173, v173, v109                             // 000000005E20: 0B5ADBAD
	v_mul_f32_e32 v174, v174, v110                             // 000000005E24: 0B5CDDAE
	v_mul_f32_e32 v175, v175, v111                             // 000000005E28: 0B5EDFAF
	s_waitcnt vmcnt(24)                                        // 000000005E2C: BF8C4F78
	buffer_load_dwordx4 a[96:99], v41, s[12:15], 0 offen       // 000000005E30: E05C1000 80836029
	v_mul_f32_e32 v52, v176, v176                              // 000000005E38: 0A6961B0
	v_mul_f32_e32 v53, v177, v177                              // 000000005E3C: 0A6B63B1
	v_mul_f32_e32 v54, v178, v178                              // 000000005E40: 0A6D65B2
	v_mul_f32_e32 v55, v179, v179                              // 000000005E44: 0A6F67B3
	v_fma_f32 v52, v52, s77, v1                                // 000000005E48: D1CB0034 04049B34
	v_fma_f32 v53, v53, s77, v1                                // 000000005E50: D1CB0035 04049B35
	v_fma_f32 v54, v54, s77, v1                                // 000000005E58: D1CB0036 04049B36
	v_fma_f32 v55, v55, s77, v1                                // 000000005E60: D1CB0037 04049B37
	v_mul_f32_e32 v52, v52, v176                               // 000000005E68: 0A696134
	v_mul_f32_e32 v53, v53, v177                               // 000000005E6C: 0A6B6335
	v_mul_f32_e32 v54, v54, v178                               // 000000005E70: 0A6D6536
	v_mul_f32_e32 v55, v55, v179                               // 000000005E74: 0A6F6737
	v_mul_f32_e64 v52, v52, s6                                 // 000000005E78: D1050034 00000D34
	v_mul_f32_e64 v53, v53, s6                                 // 000000005E80: D1050035 00000D35
	v_mul_f32_e64 v54, v54, s6                                 // 000000005E88: D1050036 00000D36
	v_mul_f32_e64 v55, v55, s6                                 // 000000005E90: D1050037 00000D37
	v_exp_f32_e32 v52, v52                                     // 000000005E98: 7E684134
	v_exp_f32_e32 v53, v53                                     // 000000005E9C: 7E6A4135
	v_exp_f32_e32 v54, v54                                     // 000000005EA0: 7E6C4136
	v_exp_f32_e32 v55, v55                                     // 000000005EA4: 7E6E4137
	buffer_load_dwordx4 a[100:103], v42, s[12:15], 0 offen     // 000000005EA8: E05C1000 8083642A
	v_add_f32_e64 v52, v52, 1.0                                // 000000005EB0: D1010034 0001E534
	v_add_f32_e64 v53, v53, 1.0                                // 000000005EB8: D1010035 0001E535
	v_add_f32_e64 v54, v54, 1.0                                // 000000005EC0: D1010036 0001E536
	v_add_f32_e64 v55, v55, 1.0                                // 000000005EC8: D1010037 0001E537
	v_rcp_f32_e32 v52, v52                                     // 000000005ED0: 7E684534
	v_rcp_f32_e32 v53, v53                                     // 000000005ED4: 7E6A4535
	v_rcp_f32_e32 v54, v54                                     // 000000005ED8: 7E6C4536
	v_rcp_f32_e32 v55, v55                                     // 000000005EDC: 7E6E4537
	v_mul_f32_e32 v176, v176, v52                              // 000000005EE0: 0B6069B0
	v_mul_f32_e32 v177, v177, v53                              // 000000005EE4: 0B626BB1
	v_mul_f32_e32 v178, v178, v54                              // 000000005EE8: 0B646DB2
	v_mul_f32_e32 v179, v179, v55                              // 000000005EEC: 0B666FB3
	v_mul_f32_e32 v176, v176, v112                             // 000000005EF0: 0B60E1B0
	v_mul_f32_e32 v177, v177, v113                             // 000000005EF4: 0B62E3B1
	v_mul_f32_e32 v178, v178, v114                             // 000000005EF8: 0B64E5B2
	v_mul_f32_e32 v179, v179, v115                             // 000000005EFC: 0B66E7B3
	buffer_load_dwordx4 a[104:107], v43, s[12:15], 0 offen     // 000000005F00: E05C1000 8083682B
	v_mul_f32_e32 v52, v180, v180                              // 000000005F08: 0A6969B4
	v_mul_f32_e32 v53, v181, v181                              // 000000005F0C: 0A6B6BB5
	v_mul_f32_e32 v54, v182, v182                              // 000000005F10: 0A6D6DB6
	v_mul_f32_e32 v55, v183, v183                              // 000000005F14: 0A6F6FB7
	v_fma_f32 v52, v52, s77, v1                                // 000000005F18: D1CB0034 04049B34
	v_fma_f32 v53, v53, s77, v1                                // 000000005F20: D1CB0035 04049B35
	v_fma_f32 v54, v54, s77, v1                                // 000000005F28: D1CB0036 04049B36
	v_fma_f32 v55, v55, s77, v1                                // 000000005F30: D1CB0037 04049B37
	v_mul_f32_e32 v52, v52, v180                               // 000000005F38: 0A696934
	v_mul_f32_e32 v53, v53, v181                               // 000000005F3C: 0A6B6B35
	v_mul_f32_e32 v54, v54, v182                               // 000000005F40: 0A6D6D36
	v_mul_f32_e32 v55, v55, v183                               // 000000005F44: 0A6F6F37
	v_mul_f32_e64 v52, v52, s6                                 // 000000005F48: D1050034 00000D34
	v_mul_f32_e64 v53, v53, s6                                 // 000000005F50: D1050035 00000D35
	v_mul_f32_e64 v54, v54, s6                                 // 000000005F58: D1050036 00000D36
	v_mul_f32_e64 v55, v55, s6                                 // 000000005F60: D1050037 00000D37
	v_exp_f32_e32 v52, v52                                     // 000000005F68: 7E684134
	v_exp_f32_e32 v53, v53                                     // 000000005F6C: 7E6A4135
	v_exp_f32_e32 v54, v54                                     // 000000005F70: 7E6C4136
	v_exp_f32_e32 v55, v55                                     // 000000005F74: 7E6E4137
	buffer_load_dwordx4 a[108:111], v44, s[12:15], 0 offen     // 000000005F78: E05C1000 80836C2C
	v_add_f32_e64 v52, v52, 1.0                                // 000000005F80: D1010034 0001E534
	v_add_f32_e64 v53, v53, 1.0                                // 000000005F88: D1010035 0001E535
	v_add_f32_e64 v54, v54, 1.0                                // 000000005F90: D1010036 0001E536
	v_add_f32_e64 v55, v55, 1.0                                // 000000005F98: D1010037 0001E537
	v_rcp_f32_e32 v52, v52                                     // 000000005FA0: 7E684534
	v_rcp_f32_e32 v53, v53                                     // 000000005FA4: 7E6A4535
	v_rcp_f32_e32 v54, v54                                     // 000000005FA8: 7E6C4536
	v_rcp_f32_e32 v55, v55                                     // 000000005FAC: 7E6E4537
	v_mul_f32_e32 v180, v180, v52                              // 000000005FB0: 0B6869B4
	v_mul_f32_e32 v181, v181, v53                              // 000000005FB4: 0B6A6BB5
	v_mul_f32_e32 v182, v182, v54                              // 000000005FB8: 0B6C6DB6
	v_mul_f32_e32 v183, v183, v55                              // 000000005FBC: 0B6E6FB7
	v_mul_f32_e32 v180, v180, v116                             // 000000005FC0: 0B68E9B4
	v_mul_f32_e32 v181, v181, v117                             // 000000005FC4: 0B6AEBB5
	v_mul_f32_e32 v182, v182, v118                             // 000000005FC8: 0B6CEDB6
	v_mul_f32_e32 v183, v183, v119                             // 000000005FCC: 0B6EEFB7
	v_mul_f32_dpp v128, v18, v128 row_newbcast:0 row_mask:0xf bank_mask:0xf// 000000005FD0: 0B0100FA FF015012
	v_mul_f32_dpp v129, v18, v129 row_newbcast:1 row_mask:0xf bank_mask:0xf// 000000005FD8: 0B0302FA FF015112
	v_mul_f32_dpp v130, v18, v130 row_newbcast:2 row_mask:0xf bank_mask:0xf// 000000005FE0: 0B0504FA FF015212
	v_mul_f32_dpp v131, v18, v131 row_newbcast:3 row_mask:0xf bank_mask:0xf// 000000005FE8: 0B0706FA FF015312
	v_mul_f32_dpp v132, v18, v132 row_newbcast:0 row_mask:0xf bank_mask:0xf// 000000005FF0: 0B0908FA FF015012
	v_mul_f32_dpp v133, v18, v133 row_newbcast:1 row_mask:0xf bank_mask:0xf// 000000005FF8: 0B0B0AFA FF015112
	v_mul_f32_dpp v134, v18, v134 row_newbcast:2 row_mask:0xf bank_mask:0xf// 000000006000: 0B0D0CFA FF015212
	v_mul_f32_dpp v135, v18, v135 row_newbcast:3 row_mask:0xf bank_mask:0xf// 000000006008: 0B0F0EFA FF015312
	v_mul_f32_dpp v136, v18, v136 row_newbcast:4 row_mask:0xf bank_mask:0xf// 000000006010: 0B1110FA FF015412
	v_mul_f32_dpp v137, v18, v137 row_newbcast:5 row_mask:0xf bank_mask:0xf// 000000006018: 0B1312FA FF015512
	v_mul_f32_dpp v138, v18, v138 row_newbcast:6 row_mask:0xf bank_mask:0xf// 000000006020: 0B1514FA FF015612
	v_mul_f32_dpp v139, v18, v139 row_newbcast:7 row_mask:0xf bank_mask:0xf// 000000006028: 0B1716FA FF015712
	v_mul_f32_dpp v140, v18, v140 row_newbcast:4 row_mask:0xf bank_mask:0xf// 000000006030: 0B1918FA FF015412
	v_mul_f32_dpp v141, v18, v141 row_newbcast:5 row_mask:0xf bank_mask:0xf// 000000006038: 0B1B1AFA FF015512
	v_mul_f32_dpp v142, v18, v142 row_newbcast:6 row_mask:0xf bank_mask:0xf// 000000006040: 0B1D1CFA FF015612
	v_mul_f32_dpp v143, v18, v143 row_newbcast:7 row_mask:0xf bank_mask:0xf// 000000006048: 0B1F1EFA FF015712
	v_mul_f32_dpp v144, v18, v144 row_newbcast:8 row_mask:0xf bank_mask:0xf// 000000006050: 0B2120FA FF015812
	v_mul_f32_dpp v145, v18, v145 row_newbcast:9 row_mask:0xf bank_mask:0xf// 000000006058: 0B2322FA FF015912
	v_mul_f32_dpp v146, v18, v146 row_newbcast:10 row_mask:0xf bank_mask:0xf// 000000006060: 0B2524FA FF015A12
	v_mul_f32_dpp v147, v18, v147 row_newbcast:11 row_mask:0xf bank_mask:0xf// 000000006068: 0B2726FA FF015B12
	v_mul_f32_dpp v148, v18, v148 row_newbcast:8 row_mask:0xf bank_mask:0xf// 000000006070: 0B2928FA FF015812
	v_mul_f32_dpp v149, v18, v149 row_newbcast:9 row_mask:0xf bank_mask:0xf// 000000006078: 0B2B2AFA FF015912
	v_mul_f32_dpp v150, v18, v150 row_newbcast:10 row_mask:0xf bank_mask:0xf// 000000006080: 0B2D2CFA FF015A12
	v_mul_f32_dpp v151, v18, v151 row_newbcast:11 row_mask:0xf bank_mask:0xf// 000000006088: 0B2F2EFA FF015B12
	v_mul_f32_dpp v152, v18, v152 row_newbcast:12 row_mask:0xf bank_mask:0xf// 000000006090: 0B3130FA FF015C12
	v_mul_f32_dpp v153, v18, v153 row_newbcast:13 row_mask:0xf bank_mask:0xf// 000000006098: 0B3332FA FF015D12
	v_mul_f32_dpp v154, v18, v154 row_newbcast:14 row_mask:0xf bank_mask:0xf// 0000000060A0: 0B3534FA FF015E12
	v_mul_f32_dpp v155, v18, v155 row_newbcast:15 row_mask:0xf bank_mask:0xf// 0000000060A8: 0B3736FA FF015F12
	v_mul_f32_dpp v156, v18, v156 row_newbcast:12 row_mask:0xf bank_mask:0xf// 0000000060B0: 0B3938FA FF015C12
	v_mul_f32_dpp v157, v18, v157 row_newbcast:13 row_mask:0xf bank_mask:0xf// 0000000060B8: 0B3B3AFA FF015D12
	v_mul_f32_dpp v158, v18, v158 row_newbcast:14 row_mask:0xf bank_mask:0xf// 0000000060C0: 0B3D3CFA FF015E12
	v_mul_f32_dpp v159, v18, v159 row_newbcast:15 row_mask:0xf bank_mask:0xf// 0000000060C8: 0B3F3EFA FF015F12
	v_mul_f32_dpp v160, v19, v160 row_newbcast:0 row_mask:0xf bank_mask:0xf// 0000000060D0: 0B4140FA FF015013
	v_mul_f32_dpp v161, v19, v161 row_newbcast:1 row_mask:0xf bank_mask:0xf// 0000000060D8: 0B4342FA FF015113
	v_mul_f32_dpp v162, v19, v162 row_newbcast:2 row_mask:0xf bank_mask:0xf// 0000000060E0: 0B4544FA FF015213
	v_mul_f32_dpp v163, v19, v163 row_newbcast:3 row_mask:0xf bank_mask:0xf// 0000000060E8: 0B4746FA FF015313
	v_mul_f32_dpp v164, v19, v164 row_newbcast:0 row_mask:0xf bank_mask:0xf// 0000000060F0: 0B4948FA FF015013
	v_mul_f32_dpp v165, v19, v165 row_newbcast:1 row_mask:0xf bank_mask:0xf// 0000000060F8: 0B4B4AFA FF015113
	v_mul_f32_dpp v166, v19, v166 row_newbcast:2 row_mask:0xf bank_mask:0xf// 000000006100: 0B4D4CFA FF015213
	v_mul_f32_dpp v167, v19, v167 row_newbcast:3 row_mask:0xf bank_mask:0xf// 000000006108: 0B4F4EFA FF015313
	v_mul_f32_dpp v168, v19, v168 row_newbcast:4 row_mask:0xf bank_mask:0xf// 000000006110: 0B5150FA FF015413
	v_mul_f32_dpp v169, v19, v169 row_newbcast:5 row_mask:0xf bank_mask:0xf// 000000006118: 0B5352FA FF015513
	v_mul_f32_dpp v170, v19, v170 row_newbcast:6 row_mask:0xf bank_mask:0xf// 000000006120: 0B5554FA FF015613
	v_mul_f32_dpp v171, v19, v171 row_newbcast:7 row_mask:0xf bank_mask:0xf// 000000006128: 0B5756FA FF015713
	v_mul_f32_dpp v172, v19, v172 row_newbcast:4 row_mask:0xf bank_mask:0xf// 000000006130: 0B5958FA FF015413
	v_mul_f32_dpp v173, v19, v173 row_newbcast:5 row_mask:0xf bank_mask:0xf// 000000006138: 0B5B5AFA FF015513
	v_mul_f32_dpp v174, v19, v174 row_newbcast:6 row_mask:0xf bank_mask:0xf// 000000006140: 0B5D5CFA FF015613
	v_mul_f32_dpp v175, v19, v175 row_newbcast:7 row_mask:0xf bank_mask:0xf// 000000006148: 0B5F5EFA FF015713
	v_mul_f32_dpp v176, v19, v176 row_newbcast:8 row_mask:0xf bank_mask:0xf// 000000006150: 0B6160FA FF015813
	v_mul_f32_dpp v177, v19, v177 row_newbcast:9 row_mask:0xf bank_mask:0xf// 000000006158: 0B6362FA FF015913
	v_mul_f32_dpp v178, v19, v178 row_newbcast:10 row_mask:0xf bank_mask:0xf// 000000006160: 0B6564FA FF015A13
	v_mul_f32_dpp v179, v19, v179 row_newbcast:11 row_mask:0xf bank_mask:0xf// 000000006168: 0B6766FA FF015B13
	v_mul_f32_dpp v180, v19, v180 row_newbcast:8 row_mask:0xf bank_mask:0xf// 000000006170: 0B6968FA FF015813
	v_mul_f32_dpp v181, v19, v181 row_newbcast:9 row_mask:0xf bank_mask:0xf// 000000006178: 0B6B6AFA FF015913
	v_mul_f32_dpp v182, v19, v182 row_newbcast:10 row_mask:0xf bank_mask:0xf// 000000006180: 0B6D6CFA FF015A13
	v_mul_f32_dpp v183, v19, v183 row_newbcast:11 row_mask:0xf bank_mask:0xf// 000000006188: 0B6F6EFA FF015B13
	v_lshlrev_b32_e32 v52, 2, v0                               // 000000006190: 24680082
	s_mul_i32 s60, s82, s71                                    // 000000006194: 923C4752
	v_add_u32_e64 v80, v52, s60                                // 000000006198: D1340050 00007934
	v_mov_b32_e32 v81, 0                                       // 0000000061A0: 7EA20280
	s_mul_i32 s60, s83, s71                                    // 0000000061A4: 923C4753
	v_add_u32_e64 v82, v52, s60                                // 0000000061A8: D1340052 00007934
	v_mov_b32_e32 v83, 0                                       // 0000000061B0: 7EA60280
	s_mul_i32 s60, s84, s71                                    // 0000000061B4: 923C4754
	v_add_u32_e64 v84, v52, s60                                // 0000000061B8: D1340054 00007934
	v_mov_b32_e32 v85, 0                                       // 0000000061C0: 7EAA0280
	s_mul_i32 s60, s85, s71                                    // 0000000061C4: 923C4755
	v_add_u32_e64 v86, v52, s60                                // 0000000061C8: D1340056 00007934
	v_mov_b32_e32 v87, 0                                       // 0000000061D0: 7EAE0280
	s_mul_i32 s60, s86, s71                                    // 0000000061D4: 923C4756
	v_add_u32_e64 v88, v52, s60                                // 0000000061D8: D1340058 00007934
	v_mov_b32_e32 v89, 0                                       // 0000000061E0: 7EB20280
	s_mul_i32 s60, s87, s71                                    // 0000000061E4: 923C4757
	v_add_u32_e64 v90, v52, s60                                // 0000000061E8: D134005A 00007934
	v_mov_b32_e32 v91, 0                                       // 0000000061F0: 7EB60280
	s_mul_i32 s60, s88, s71                                    // 0000000061F4: 923C4758
	v_add_u32_e64 v92, v52, s60                                // 0000000061F8: D134005C 00007934
	v_mov_b32_e32 v93, 0                                       // 000000006200: 7EBA0280
	s_mul_i32 s60, s89, s71                                    // 000000006204: 923C4759
	v_add_u32_e64 v94, v52, s60                                // 000000006208: D134005E 00007934
	v_mov_b32_e32 v95, 0                                       // 000000006210: 7EBE0280
	buffer_load_dword v12, v5, s[16:19], 0 offen               // 000000006214: E0501000 80040C05
	v_mov_b32_e32 v22, 0x358637bd                              // 00000000621C: 7E2C02FF 358637BD
	v_mov_b32_e32 v23, 0x358637bd                              // 000000006224: 7E2E02FF 358637BD
	v_max3_f32 v22, |v128|, |v129|, v22                        // 00000000622C: D1D30316 045B0380
	v_max3_f32 v22, |v130|, |v131|, v22                        // 000000006234: D1D30316 045B0782
	v_max3_f32 v23, |v132|, |v133|, v23                        // 00000000623C: D1D30317 045F0B84
	v_max3_f32 v23, |v134|, |v135|, v23                        // 000000006244: D1D30317 045F0F86
	v_max3_f32 v22, |v136|, |v137|, v22                        // 00000000624C: D1D30316 045B1388
	v_max3_f32 v22, |v138|, |v139|, v22                        // 000000006254: D1D30316 045B178A
	v_max3_f32 v23, |v140|, |v141|, v23                        // 00000000625C: D1D30317 045F1B8C
	v_max3_f32 v23, |v142|, |v143|, v23                        // 000000006264: D1D30317 045F1F8E
	v_max3_f32 v22, |v144|, |v145|, v22                        // 00000000626C: D1D30316 045B2390
	v_max3_f32 v22, |v146|, |v147|, v22                        // 000000006274: D1D30316 045B2792
	v_max3_f32 v23, |v148|, |v149|, v23                        // 00000000627C: D1D30317 045F2B94
	v_max3_f32 v23, |v150|, |v151|, v23                        // 000000006284: D1D30317 045F2F96
	v_max3_f32 v22, |v152|, |v153|, v22                        // 00000000628C: D1D30316 045B3398
	v_max3_f32 v22, |v154|, |v155|, v22                        // 000000006294: D1D30316 045B379A
	v_max3_f32 v23, |v156|, |v157|, v23                        // 00000000629C: D1D30317 045F3B9C
	v_max3_f32 v23, |v158|, |v159|, v23                        // 0000000062A4: D1D30317 045F3F9E
	v_max3_f32 v22, |v160|, |v161|, v22                        // 0000000062AC: D1D30316 045B43A0
	v_max3_f32 v22, |v162|, |v163|, v22                        // 0000000062B4: D1D30316 045B47A2
	v_max3_f32 v23, |v164|, |v165|, v23                        // 0000000062BC: D1D30317 045F4BA4
	v_max3_f32 v23, |v166|, |v167|, v23                        // 0000000062C4: D1D30317 045F4FA6
	v_max3_f32 v22, |v168|, |v169|, v22                        // 0000000062CC: D1D30316 045B53A8
	v_max3_f32 v22, |v170|, |v171|, v22                        // 0000000062D4: D1D30316 045B57AA
	v_max3_f32 v23, |v172|, |v173|, v23                        // 0000000062DC: D1D30317 045F5BAC
	v_max3_f32 v23, |v174|, |v175|, v23                        // 0000000062E4: D1D30317 045F5FAE
	v_max3_f32 v22, |v176|, |v177|, v22                        // 0000000062EC: D1D30316 045B63B0
	v_max3_f32 v22, |v178|, |v179|, v22                        // 0000000062F4: D1D30316 045B67B2
	v_max3_f32 v23, |v180|, |v181|, v23                        // 0000000062FC: D1D30317 045F6BB4
	v_max3_f32 v23, |v182|, |v183|, v23                        // 000000006304: D1D30317 045F6FB6
	v_lshlrev_b32_e32 v52, 3, v0                               // 00000000630C: 24680083
	s_mul_i32 s60, 0x200, s7                                   // 000000006310: 923C07FF 00000200
	v_add_u32_e32 v52, s60, v52                                // 000000006318: 6868683C
	ds_write_b64 v52, v[22:23] offset:16640                    // 00000000631C: D89A4100 00001634
	s_waitcnt lgkmcnt(0)                                       // 000000006324: BF8CC07F
	s_barrier                                                  // 000000006328: BF8A0000
	v_and_b32_e32 v52, 15, v0                                  // 00000000632C: 2668008F
	v_lshlrev_b32_e32 v52, 3, v52                              // 000000006330: 24686883
	ds_read_b64 v[96:97], v52 offset:16640                     // 000000006334: D8EC4100 60000034
	ds_read_b64 v[98:99], v52 offset:16768                     // 00000000633C: D8EC4180 62000034
	ds_read_b64 v[100:101], v52 offset:16896                   // 000000006344: D8EC4200 64000034
	ds_read_b64 v[102:103], v52 offset:17024                   // 00000000634C: D8EC4280 66000034
	ds_read_b64 v[104:105], v52 offset:17152                   // 000000006354: D8EC4300 68000034
	ds_read_b64 v[106:107], v52 offset:17280                   // 00000000635C: D8EC4380 6A000034
	ds_read_b64 v[108:109], v52 offset:17408                   // 000000006364: D8EC4400 6C000034
	ds_read_b64 v[110:111], v52 offset:17536                   // 00000000636C: D8EC4480 6E000034
	ds_read_b64 v[112:113], v52 offset:17664                   // 000000006374: D8EC4500 70000034
	ds_read_b64 v[114:115], v52 offset:17792                   // 00000000637C: D8EC4580 72000034
	ds_read_b64 v[116:117], v52 offset:17920                   // 000000006384: D8EC4600 74000034
	ds_read_b64 v[118:119], v52 offset:18048                   // 00000000638C: D8EC4680 76000034
	ds_read_b64 v[120:121], v52 offset:18176                   // 000000006394: D8EC4700 78000034
	ds_read_b64 v[122:123], v52 offset:18304                   // 00000000639C: D8EC4780 7A000034
	ds_read_b64 v[124:125], v52 offset:18432                   // 0000000063A4: D8EC4800 7C000034
	ds_read_b64 v[126:127], v52 offset:18560                   // 0000000063AC: D8EC4880 7E000034
	s_waitcnt lgkmcnt(0)                                       // 0000000063B4: BF8CC07F
	v_max3_f32 v22, |v96|, |v98|, v22                          // 0000000063B8: D1D30316 045AC560
	v_max3_f32 v23, |v97|, |v99|, v23                          // 0000000063C0: D1D30317 045EC761
	v_max3_f32 v22, |v100|, |v102|, v22                        // 0000000063C8: D1D30316 045ACD64
	v_max3_f32 v23, |v101|, |v103|, v23                        // 0000000063D0: D1D30317 045ECF65
	v_max3_f32 v22, |v104|, |v106|, v22                        // 0000000063D8: D1D30316 045AD568
	v_max3_f32 v23, |v105|, |v107|, v23                        // 0000000063E0: D1D30317 045ED769
	v_max3_f32 v22, |v108|, |v110|, v22                        // 0000000063E8: D1D30316 045ADD6C
	v_max3_f32 v23, |v109|, |v111|, v23                        // 0000000063F0: D1D30317 045EDF6D
	v_max3_f32 v22, |v112|, |v114|, v22                        // 0000000063F8: D1D30316 045AE570
	v_max3_f32 v23, |v113|, |v115|, v23                        // 000000006400: D1D30317 045EE771
	v_max3_f32 v22, |v116|, |v118|, v22                        // 000000006408: D1D30316 045AED74
	v_max3_f32 v23, |v117|, |v119|, v23                        // 000000006410: D1D30317 045EEF75
	v_max3_f32 v22, |v120|, |v122|, v22                        // 000000006418: D1D30316 045AF578
	v_max3_f32 v23, |v121|, |v123|, v23                        // 000000006420: D1D30317 045EF779
	v_max3_f32 v22, |v124|, |v126|, v22                        // 000000006428: D1D30316 045AFD7C
	v_max3_f32 v23, |v125|, |v127|, v23                        // 000000006430: D1D30317 045EFF7D
	v_rcp_f32_e32 v22, v22                                     // 000000006438: 7E2C4516
	v_rcp_f32_e32 v23, v23                                     // 00000000643C: 7E2E4517
	v_mul_f32_e32 v22, 0x42fe0000, v22                         // 000000006440: 0A2C2CFF 42FE0000
	v_mul_f32_e32 v23, 0x42fe0000, v23                         // 000000006448: 0A2E2EFF 42FE0000
	v_mul_f32_e32 v128, v22, v128                              // 000000006450: 0B010116
	v_mul_f32_e32 v129, v22, v129                              // 000000006454: 0B030316
	v_mul_f32_e32 v130, v22, v130                              // 000000006458: 0B050516
	v_mul_f32_e32 v131, v22, v131                              // 00000000645C: 0B070716
	v_cvt_i32_f32_e32 v128, v128                               // 000000006460: 7F001180
	v_cvt_i32_f32_e32 v129, v129                               // 000000006464: 7F021181
	v_cvt_i32_f32_e32 v130, v130                               // 000000006468: 7F041182
	v_cvt_i32_f32_e32 v131, v131                               // 00000000646C: 7F061183
	v_perm_b32 v128, v129, v128, s53                           // 000000006470: D1ED0080 00D70181
	v_perm_b32 v128, v130, v128, s54                           // 000000006478: D1ED0080 00DB0182
	v_perm_b32 v128, v131, v128, s55                           // 000000006480: D1ED0080 00DF0183
	v_mul_f32_e32 v132, v23, v132                              // 000000006488: 0B090917
	v_mul_f32_e32 v133, v23, v133                              // 00000000648C: 0B0B0B17
	v_mul_f32_e32 v134, v23, v134                              // 000000006490: 0B0D0D17
	v_mul_f32_e32 v135, v23, v135                              // 000000006494: 0B0F0F17
	v_cvt_i32_f32_e32 v132, v132                               // 000000006498: 7F081184
	v_cvt_i32_f32_e32 v133, v133                               // 00000000649C: 7F0A1185
	v_cvt_i32_f32_e32 v134, v134                               // 0000000064A0: 7F0C1186
	v_cvt_i32_f32_e32 v135, v135                               // 0000000064A4: 7F0E1187
	v_perm_b32 v129, v133, v132, s53                           // 0000000064A8: D1ED0081 00D70985
	v_perm_b32 v129, v134, v129, s54                           // 0000000064B0: D1ED0081 00DB0386
	v_perm_b32 v129, v135, v129, s55                           // 0000000064B8: D1ED0081 00DF0387
	v_mul_f32_e32 v136, v22, v136                              // 0000000064C0: 0B111116
	v_mul_f32_e32 v137, v22, v137                              // 0000000064C4: 0B131316
	v_mul_f32_e32 v138, v22, v138                              // 0000000064C8: 0B151516
	v_mul_f32_e32 v139, v22, v139                              // 0000000064CC: 0B171716
	v_cvt_i32_f32_e32 v136, v136                               // 0000000064D0: 7F101188
	v_cvt_i32_f32_e32 v137, v137                               // 0000000064D4: 7F121189
	v_cvt_i32_f32_e32 v138, v138                               // 0000000064D8: 7F14118A
	v_cvt_i32_f32_e32 v139, v139                               // 0000000064DC: 7F16118B
	v_perm_b32 v130, v137, v136, s53                           // 0000000064E0: D1ED0082 00D71189
	v_perm_b32 v130, v138, v130, s54                           // 0000000064E8: D1ED0082 00DB058A
	v_perm_b32 v130, v139, v130, s55                           // 0000000064F0: D1ED0082 00DF058B
	v_mul_f32_e32 v140, v23, v140                              // 0000000064F8: 0B191917
	v_mul_f32_e32 v141, v23, v141                              // 0000000064FC: 0B1B1B17
	v_mul_f32_e32 v142, v23, v142                              // 000000006500: 0B1D1D17
	v_mul_f32_e32 v143, v23, v143                              // 000000006504: 0B1F1F17
	v_cvt_i32_f32_e32 v140, v140                               // 000000006508: 7F18118C
	v_cvt_i32_f32_e32 v141, v141                               // 00000000650C: 7F1A118D
	v_cvt_i32_f32_e32 v142, v142                               // 000000006510: 7F1C118E
	v_cvt_i32_f32_e32 v143, v143                               // 000000006514: 7F1E118F
	v_perm_b32 v131, v141, v140, s53                           // 000000006518: D1ED0083 00D7198D
	v_perm_b32 v131, v142, v131, s54                           // 000000006520: D1ED0083 00DB078E
	v_perm_b32 v131, v143, v131, s55                           // 000000006528: D1ED0083 00DF078F
	v_mul_f32_e32 v144, v22, v144                              // 000000006530: 0B212116
	v_mul_f32_e32 v145, v22, v145                              // 000000006534: 0B232316
	v_mul_f32_e32 v146, v22, v146                              // 000000006538: 0B252516
	v_mul_f32_e32 v147, v22, v147                              // 00000000653C: 0B272716
	v_cvt_i32_f32_e32 v144, v144                               // 000000006540: 7F201190
	v_cvt_i32_f32_e32 v145, v145                               // 000000006544: 7F221191
	v_cvt_i32_f32_e32 v146, v146                               // 000000006548: 7F241192
	v_cvt_i32_f32_e32 v147, v147                               // 00000000654C: 7F261193
	v_perm_b32 v132, v145, v144, s53                           // 000000006550: D1ED0084 00D72191
	v_perm_b32 v132, v146, v132, s54                           // 000000006558: D1ED0084 00DB0992
	v_perm_b32 v132, v147, v132, s55                           // 000000006560: D1ED0084 00DF0993
	v_mul_f32_e32 v148, v23, v148                              // 000000006568: 0B292917
	v_mul_f32_e32 v149, v23, v149                              // 00000000656C: 0B2B2B17
	v_mul_f32_e32 v150, v23, v150                              // 000000006570: 0B2D2D17
	v_mul_f32_e32 v151, v23, v151                              // 000000006574: 0B2F2F17
	v_cvt_i32_f32_e32 v148, v148                               // 000000006578: 7F281194
	v_cvt_i32_f32_e32 v149, v149                               // 00000000657C: 7F2A1195
	v_cvt_i32_f32_e32 v150, v150                               // 000000006580: 7F2C1196
	v_cvt_i32_f32_e32 v151, v151                               // 000000006584: 7F2E1197
	v_perm_b32 v133, v149, v148, s53                           // 000000006588: D1ED0085 00D72995
	v_perm_b32 v133, v150, v133, s54                           // 000000006590: D1ED0085 00DB0B96
	v_perm_b32 v133, v151, v133, s55                           // 000000006598: D1ED0085 00DF0B97
	v_mul_f32_e32 v152, v22, v152                              // 0000000065A0: 0B313116
	v_mul_f32_e32 v153, v22, v153                              // 0000000065A4: 0B333316
	v_mul_f32_e32 v154, v22, v154                              // 0000000065A8: 0B353516
	v_mul_f32_e32 v155, v22, v155                              // 0000000065AC: 0B373716
	v_cvt_i32_f32_e32 v152, v152                               // 0000000065B0: 7F301198
	v_cvt_i32_f32_e32 v153, v153                               // 0000000065B4: 7F321199
	v_cvt_i32_f32_e32 v154, v154                               // 0000000065B8: 7F34119A
	v_cvt_i32_f32_e32 v155, v155                               // 0000000065BC: 7F36119B
	v_perm_b32 v134, v153, v152, s53                           // 0000000065C0: D1ED0086 00D73199
	v_perm_b32 v134, v154, v134, s54                           // 0000000065C8: D1ED0086 00DB0D9A
	v_perm_b32 v134, v155, v134, s55                           // 0000000065D0: D1ED0086 00DF0D9B
	v_mul_f32_e32 v156, v23, v156                              // 0000000065D8: 0B393917
	v_mul_f32_e32 v157, v23, v157                              // 0000000065DC: 0B3B3B17
	v_mul_f32_e32 v158, v23, v158                              // 0000000065E0: 0B3D3D17
	v_mul_f32_e32 v159, v23, v159                              // 0000000065E4: 0B3F3F17
	v_cvt_i32_f32_e32 v156, v156                               // 0000000065E8: 7F38119C
	v_cvt_i32_f32_e32 v157, v157                               // 0000000065EC: 7F3A119D
	v_cvt_i32_f32_e32 v158, v158                               // 0000000065F0: 7F3C119E
	v_cvt_i32_f32_e32 v159, v159                               // 0000000065F4: 7F3E119F
	v_perm_b32 v135, v157, v156, s53                           // 0000000065F8: D1ED0087 00D7399D
	v_perm_b32 v135, v158, v135, s54                           // 000000006600: D1ED0087 00DB0F9E
	v_perm_b32 v135, v159, v135, s55                           // 000000006608: D1ED0087 00DF0F9F
	v_mul_f32_e32 v160, v22, v160                              // 000000006610: 0B414116
	v_mul_f32_e32 v161, v22, v161                              // 000000006614: 0B434316
	v_mul_f32_e32 v162, v22, v162                              // 000000006618: 0B454516
	v_mul_f32_e32 v163, v22, v163                              // 00000000661C: 0B474716
	v_cvt_i32_f32_e32 v160, v160                               // 000000006620: 7F4011A0
	v_cvt_i32_f32_e32 v161, v161                               // 000000006624: 7F4211A1
	v_cvt_i32_f32_e32 v162, v162                               // 000000006628: 7F4411A2
	v_cvt_i32_f32_e32 v163, v163                               // 00000000662C: 7F4611A3
	v_perm_b32 v136, v161, v160, s53                           // 000000006630: D1ED0088 00D741A1
	v_perm_b32 v136, v162, v136, s54                           // 000000006638: D1ED0088 00DB11A2
	v_perm_b32 v136, v163, v136, s55                           // 000000006640: D1ED0088 00DF11A3
	v_mul_f32_e32 v164, v23, v164                              // 000000006648: 0B494917
	v_mul_f32_e32 v165, v23, v165                              // 00000000664C: 0B4B4B17
	v_mul_f32_e32 v166, v23, v166                              // 000000006650: 0B4D4D17
	v_mul_f32_e32 v167, v23, v167                              // 000000006654: 0B4F4F17
	v_cvt_i32_f32_e32 v164, v164                               // 000000006658: 7F4811A4
	v_cvt_i32_f32_e32 v165, v165                               // 00000000665C: 7F4A11A5
	v_cvt_i32_f32_e32 v166, v166                               // 000000006660: 7F4C11A6
	v_cvt_i32_f32_e32 v167, v167                               // 000000006664: 7F4E11A7
	v_perm_b32 v137, v165, v164, s53                           // 000000006668: D1ED0089 00D749A5
	v_perm_b32 v137, v166, v137, s54                           // 000000006670: D1ED0089 00DB13A6
	v_perm_b32 v137, v167, v137, s55                           // 000000006678: D1ED0089 00DF13A7
	v_mul_f32_e32 v168, v22, v168                              // 000000006680: 0B515116
	v_mul_f32_e32 v169, v22, v169                              // 000000006684: 0B535316
	v_mul_f32_e32 v170, v22, v170                              // 000000006688: 0B555516
	v_mul_f32_e32 v171, v22, v171                              // 00000000668C: 0B575716
	v_cvt_i32_f32_e32 v168, v168                               // 000000006690: 7F5011A8
	v_cvt_i32_f32_e32 v169, v169                               // 000000006694: 7F5211A9
	v_cvt_i32_f32_e32 v170, v170                               // 000000006698: 7F5411AA
	v_cvt_i32_f32_e32 v171, v171                               // 00000000669C: 7F5611AB
	v_perm_b32 v138, v169, v168, s53                           // 0000000066A0: D1ED008A 00D751A9
	v_perm_b32 v138, v170, v138, s54                           // 0000000066A8: D1ED008A 00DB15AA
	v_perm_b32 v138, v171, v138, s55                           // 0000000066B0: D1ED008A 00DF15AB
	v_mul_f32_e32 v172, v23, v172                              // 0000000066B8: 0B595917
	v_mul_f32_e32 v173, v23, v173                              // 0000000066BC: 0B5B5B17
	v_mul_f32_e32 v174, v23, v174                              // 0000000066C0: 0B5D5D17
	v_mul_f32_e32 v175, v23, v175                              // 0000000066C4: 0B5F5F17
	v_cvt_i32_f32_e32 v172, v172                               // 0000000066C8: 7F5811AC
	v_cvt_i32_f32_e32 v173, v173                               // 0000000066CC: 7F5A11AD
	v_cvt_i32_f32_e32 v174, v174                               // 0000000066D0: 7F5C11AE
	v_cvt_i32_f32_e32 v175, v175                               // 0000000066D4: 7F5E11AF
	v_perm_b32 v139, v173, v172, s53                           // 0000000066D8: D1ED008B 00D759AD
	v_perm_b32 v139, v174, v139, s54                           // 0000000066E0: D1ED008B 00DB17AE
	v_perm_b32 v139, v175, v139, s55                           // 0000000066E8: D1ED008B 00DF17AF
	v_mul_f32_e32 v176, v22, v176                              // 0000000066F0: 0B616116
	v_mul_f32_e32 v177, v22, v177                              // 0000000066F4: 0B636316
	v_mul_f32_e32 v178, v22, v178                              // 0000000066F8: 0B656516
	v_mul_f32_e32 v179, v22, v179                              // 0000000066FC: 0B676716
	v_cvt_i32_f32_e32 v176, v176                               // 000000006700: 7F6011B0
	v_cvt_i32_f32_e32 v177, v177                               // 000000006704: 7F6211B1
	v_cvt_i32_f32_e32 v178, v178                               // 000000006708: 7F6411B2
	v_cvt_i32_f32_e32 v179, v179                               // 00000000670C: 7F6611B3
	v_perm_b32 v140, v177, v176, s53                           // 000000006710: D1ED008C 00D761B1
	v_perm_b32 v140, v178, v140, s54                           // 000000006718: D1ED008C 00DB19B2
	v_perm_b32 v140, v179, v140, s55                           // 000000006720: D1ED008C 00DF19B3
	v_mul_f32_e32 v180, v23, v180                              // 000000006728: 0B696917
	v_mul_f32_e32 v181, v23, v181                              // 00000000672C: 0B6B6B17
	v_mul_f32_e32 v182, v23, v182                              // 000000006730: 0B6D6D17
	v_mul_f32_e32 v183, v23, v183                              // 000000006734: 0B6F6F17
	v_cvt_i32_f32_e32 v180, v180                               // 000000006738: 7F6811B4
	v_cvt_i32_f32_e32 v181, v181                               // 00000000673C: 7F6A11B5
	v_cvt_i32_f32_e32 v182, v182                               // 000000006740: 7F6C11B6
	v_cvt_i32_f32_e32 v183, v183                               // 000000006744: 7F6E11B7
	v_perm_b32 v141, v181, v180, s53                           // 000000006748: D1ED008D 00D769B5
	v_perm_b32 v141, v182, v141, s54                           // 000000006750: D1ED008D 00DB1BB6
	v_perm_b32 v141, v183, v141, s55                           // 000000006758: D1ED008D 00DF1BB7
	v_rcp_f32_e32 v24, v22                                     // 000000006760: 7E304516
	v_rcp_f32_e32 v25, v23                                     // 000000006764: 7E324517
	v_lshrrev_b32_e32 v52, 5, v0                               // 000000006768: 20680085
	v_lshlrev_b32_e32 v53, 5, v52                              // 00000000676C: 246A6885
	v_and_b32_e32 v52, 31, v0                                  // 000000006770: 2668009F
	v_lshrrev_b32_e32 v54, 4, v52                              // 000000006774: 206C6884
	v_add_u32_e32 v53, v54, v53                                // 000000006778: 686A6B36
	v_and_b32_e32 v52, 15, v0                                  // 00000000677C: 2668008F
	v_lshlrev_b32_e32 v52, 1, v52                              // 000000006780: 24686881
	v_add_u32_e32 v53, v52, v53                                // 000000006784: 686A6B34
	v_lshlrev_b32_e32 v52, 2, v53                              // 000000006788: 24686A82
	s_mul_i32 s60, 0x100, s7                                   // 00000000678C: 923C07FF 00000100
	v_add_u32_e64 v52, v52, s60                                // 000000006794: D1340034 00007934
	ds_write_b32 v52, v128 offset:18688                        // 00000000679C: D81A4900 00008034
	ds_write_b32 v52, v129 offset:25856                        // 0000000067A4: D81A6500 00008134
	ds_write_b32 v52, v130 offset:19712                        // 0000000067AC: D81A4D00 00008234
	ds_write_b32 v52, v131 offset:26880                        // 0000000067B4: D81A6900 00008334
	ds_write_b32 v52, v132 offset:20736                        // 0000000067BC: D81A5100 00008434
	ds_write_b32 v52, v133 offset:27904                        // 0000000067C4: D81A6D00 00008534
	ds_write_b32 v52, v134 offset:21760                        // 0000000067CC: D81A5500 00008634
	ds_write_b32 v52, v135 offset:28928                        // 0000000067D4: D81A7100 00008734
	ds_write_b32 v52, v136 offset:22784                        // 0000000067DC: D81A5900 00008834
	ds_write_b32 v52, v137 offset:29952                        // 0000000067E4: D81A7500 00008934
	ds_write_b32 v52, v138 offset:23808                        // 0000000067EC: D81A5D00 00008A34
	ds_write_b32 v52, v139 offset:30976                        // 0000000067F4: D81A7900 00008B34
	ds_write_b32 v52, v140 offset:24832                        // 0000000067FC: D81A6100 00008C34
	ds_write_b32 v52, v141 offset:32000                        // 000000006804: D81A7D00 00008D34
	s_waitcnt lgkmcnt(0)                                       // 00000000680C: BF8CC07F
	s_barrier                                                  // 000000006810: BF8A0000
	v_lshrrev_b32_e32 v52, 4, v0                               // 000000006814: 20680084
	v_lshlrev_b32_e32 v53, 6, v52                              // 000000006818: 246A6886
	v_and_b32_e32 v52, 15, v0                                  // 00000000681C: 2668008F
	v_lshlrev_b32_e32 v52, 1, v52                              // 000000006820: 24686881
	v_add_u32_e32 v53, v52, v53                                // 000000006824: 686A6B34
	v_lshlrev_b32_e32 v52, 2, v53                              // 000000006828: 24686A82
	ds_read_b64 v[128:129], v52 offset:18688                   // 00000000682C: D8EC4900 80000034
	ds_read_b64 v[130:131], v52 offset:18816                   // 000000006834: D8EC4980 82000034
	ds_read_b64 v[132:133], v52 offset:19712                   // 00000000683C: D8EC4D00 84000034
	ds_read_b64 v[134:135], v52 offset:19840                   // 000000006844: D8EC4D80 86000034
	ds_read_b64 v[136:137], v52 offset:20736                   // 00000000684C: D8EC5100 88000034
	ds_read_b64 v[138:139], v52 offset:20864                   // 000000006854: D8EC5180 8A000034
	ds_read_b64 v[140:141], v52 offset:21760                   // 00000000685C: D8EC5500 8C000034
	ds_read_b64 v[142:143], v52 offset:21888                   // 000000006864: D8EC5580 8E000034
	ds_read_b64 v[144:145], v52 offset:22784                   // 00000000686C: D8EC5900 90000034
	ds_read_b64 v[146:147], v52 offset:22912                   // 000000006874: D8EC5980 92000034
	ds_read_b64 v[148:149], v52 offset:23808                   // 00000000687C: D8EC5D00 94000034
	ds_read_b64 v[150:151], v52 offset:23936                   // 000000006884: D8EC5D80 96000034
	ds_read_b64 v[152:153], v52 offset:24832                   // 00000000688C: D8EC6100 98000034
	ds_read_b64 v[154:155], v52 offset:24960                   // 000000006894: D8EC6180 9A000034
	ds_read_b64 v[156:157], v52 offset:25856                   // 00000000689C: D8EC6500 9C000034
	ds_read_b64 v[158:159], v52 offset:25984                   // 0000000068A4: D8EC6580 9E000034
	ds_read_b64 v[160:161], v52 offset:26880                   // 0000000068AC: D8EC6900 A0000034
	ds_read_b64 v[162:163], v52 offset:27008                   // 0000000068B4: D8EC6980 A2000034
	ds_read_b64 v[164:165], v52 offset:27904                   // 0000000068BC: D8EC6D00 A4000034
	ds_read_b64 v[166:167], v52 offset:28032                   // 0000000068C4: D8EC6D80 A6000034
	ds_read_b64 v[168:169], v52 offset:28928                   // 0000000068CC: D8EC7100 A8000034
	ds_read_b64 v[170:171], v52 offset:29056                   // 0000000068D4: D8EC7180 AA000034
	ds_read_b64 v[172:173], v52 offset:29952                   // 0000000068DC: D8EC7500 AC000034
	ds_read_b64 v[174:175], v52 offset:30080                   // 0000000068E4: D8EC7580 AE000034
	ds_read_b64 v[176:177], v52 offset:30976                   // 0000000068EC: D8EC7900 B0000034
	ds_read_b64 v[178:179], v52 offset:31104                   // 0000000068F4: D8EC7980 B2000034
	ds_read_b64 v[180:181], v52 offset:32000                   // 0000000068FC: D8EC7D00 B4000034
	ds_read_b64 v[182:183], v52 offset:32128                   // 000000006904: D8EC7D80 B6000034
	s_add_u32 s12, s56, s12                                    // 00000000690C: 800C0C38
	s_addc_u32 s13, 0, s13                                     // 000000006910: 820D0D80
	s_add_u32 s16, s79, s16                                    // 000000006914: 8010104F
	s_addc_u32 s17, 0, s17                                     // 000000006918: 82111180
	s_mov_b32 s80, 0                                           // 00000000691C: BED00080
	s_waitcnt vmcnt(0) expcnt(0) lgkmcnt(0)                    // 000000006920: BF8C0000

0000000000006924 <label_0EC9>:
	s_waitcnt vmcnt(41)                                        // 000000006924: BF8C8F79
	s_barrier                                                  // 000000006928: BF8A0000
	v_mfma_i32_16x16x32_i8 v[184:187], a[0:1], v[128:129], 0   // 00000000692C: D3D700B8 0A030100
	v_mfma_i32_16x16x32_i8 v[184:187], a[2:3], v[130:131], v[184:187]// 000000006934: D3D700B8 0EE30502
	buffer_load_dwordx4 a[112:115], v41, s[12:15], 0 offen     // 00000000693C: E05C1000 80837029
	v_mfma_i32_16x16x32_i8 v[188:191], a[0:1], v[156:157], 0   // 000000006944: D3D700BC 0A033900
	v_mfma_i32_16x16x32_i8 v[188:191], a[2:3], v[158:159], v[188:191]// 00000000694C: D3D700BC 0EF33D02
	v_mfma_i32_16x16x32_i8 v[192:195], a[4:5], v[128:129], 0   // 000000006954: D3D700C0 0A030104
	v_mfma_i32_16x16x32_i8 v[192:195], a[6:7], v[130:131], v[192:195]// 00000000695C: D3D700C0 0F030506
	buffer_load_dwordx4 a[116:119], v42, s[12:15], 0 offen     // 000000006964: E05C1000 8083742A
	v_mfma_i32_16x16x32_i8 v[196:199], a[4:5], v[156:157], 0   // 00000000696C: D3D700C4 0A033904
	v_mfma_i32_16x16x32_i8 v[196:199], a[6:7], v[158:159], v[196:199]// 000000006974: D3D700C4 0F133D06
	v_mfma_i32_16x16x32_i8 v[200:203], a[8:9], v[128:129], 0   // 00000000697C: D3D700C8 0A030108
	v_mfma_i32_16x16x32_i8 v[200:203], a[10:11], v[130:131], v[200:203]// 000000006984: D3D700C8 0F23050A
	buffer_load_dwordx4 a[120:123], v43, s[12:15], 0 offen     // 00000000698C: E05C1000 8083782B
	v_mfma_i32_16x16x32_i8 v[204:207], a[8:9], v[156:157], 0   // 000000006994: D3D700CC 0A033908
	v_mfma_i32_16x16x32_i8 v[204:207], a[10:11], v[158:159], v[204:207]// 00000000699C: D3D700CC 0F333D0A
	v_mfma_i32_16x16x32_i8 v[208:211], a[12:13], v[128:129], 0 // 0000000069A4: D3D700D0 0A03010C
	v_mfma_i32_16x16x32_i8 v[208:211], a[14:15], v[130:131], v[208:211]// 0000000069AC: D3D700D0 0F43050E
	buffer_load_dwordx4 a[124:127], v44, s[12:15], 0 offen     // 0000000069B4: E05C1000 80837C2C
	s_add_u32 s12, s78, s12                                    // 0000000069BC: 800C0C4E
	s_addc_u32 s13, 0, s13                                     // 0000000069C0: 820D0D80
	v_mfma_i32_16x16x32_i8 v[212:215], a[12:13], v[156:157], 0 // 0000000069C4: D3D700D4 0A03390C
	v_mfma_i32_16x16x32_i8 v[212:215], a[14:15], v[158:159], v[212:215]// 0000000069CC: D3D700D4 0F533D0E
	s_waitcnt vmcnt(41)                                        // 0000000069D4: BF8C8F79
	v_mfma_i32_16x16x32_i8 v[184:187], a[16:17], v[132:133], v[184:187]// 0000000069D8: D3D700B8 0EE30910
	v_mfma_i32_16x16x32_i8 v[184:187], a[18:19], v[134:135], v[184:187]// 0000000069E0: D3D700B8 0EE30D12
	buffer_load_dwordx4 a[128:131], v41, s[12:15], 0 offen     // 0000000069E8: E05C1000 80838029
	v_mfma_i32_16x16x32_i8 v[188:191], a[16:17], v[160:161], v[188:191]// 0000000069F0: D3D700BC 0EF34110
	v_mfma_i32_16x16x32_i8 v[188:191], a[18:19], v[162:163], v[188:191]// 0000000069F8: D3D700BC 0EF34512
	v_mfma_i32_16x16x32_i8 v[192:195], a[20:21], v[132:133], v[192:195]// 000000006A00: D3D700C0 0F030914
	v_mfma_i32_16x16x32_i8 v[192:195], a[22:23], v[134:135], v[192:195]// 000000006A08: D3D700C0 0F030D16
	buffer_load_dwordx4 a[132:135], v42, s[12:15], 0 offen     // 000000006A10: E05C1000 8083842A
	v_mfma_i32_16x16x32_i8 v[196:199], a[20:21], v[160:161], v[196:199]// 000000006A18: D3D700C4 0F134114
	v_mfma_i32_16x16x32_i8 v[196:199], a[22:23], v[162:163], v[196:199]// 000000006A20: D3D700C4 0F134516
	v_mfma_i32_16x16x32_i8 v[200:203], a[24:25], v[132:133], v[200:203]// 000000006A28: D3D700C8 0F230918
	v_mfma_i32_16x16x32_i8 v[200:203], a[26:27], v[134:135], v[200:203]// 000000006A30: D3D700C8 0F230D1A
	buffer_load_dwordx4 a[136:139], v43, s[12:15], 0 offen     // 000000006A38: E05C1000 8083882B
	v_mfma_i32_16x16x32_i8 v[204:207], a[24:25], v[160:161], v[204:207]// 000000006A40: D3D700CC 0F334118
	v_mfma_i32_16x16x32_i8 v[204:207], a[26:27], v[162:163], v[204:207]// 000000006A48: D3D700CC 0F33451A
	v_mfma_i32_16x16x32_i8 v[208:211], a[28:29], v[132:133], v[208:211]// 000000006A50: D3D700D0 0F43091C
	v_mfma_i32_16x16x32_i8 v[208:211], a[30:31], v[134:135], v[208:211]// 000000006A58: D3D700D0 0F430D1E
	buffer_load_dwordx4 a[140:143], v44, s[12:15], 0 offen     // 000000006A60: E05C1000 80838C2C
	s_add_u32 s12, s78, s12                                    // 000000006A68: 800C0C4E
	s_addc_u32 s13, 0, s13                                     // 000000006A6C: 820D0D80
	v_mfma_i32_16x16x32_i8 v[212:215], a[28:29], v[160:161], v[212:215]// 000000006A70: D3D700D4 0F53411C
	v_mfma_i32_16x16x32_i8 v[212:215], a[30:31], v[162:163], v[212:215]// 000000006A78: D3D700D4 0F53451E
	s_waitcnt vmcnt(41)                                        // 000000006A80: BF8C8F79
	v_mfma_i32_16x16x32_i8 v[184:187], a[32:33], v[136:137], v[184:187]// 000000006A84: D3D700B8 0EE31120
	v_mfma_i32_16x16x32_i8 v[184:187], a[34:35], v[138:139], v[184:187]// 000000006A8C: D3D700B8 0EE31522
	buffer_load_dwordx4 a[144:147], v41, s[12:15], 0 offen     // 000000006A94: E05C1000 80839029
	v_mfma_i32_16x16x32_i8 v[188:191], a[32:33], v[164:165], v[188:191]// 000000006A9C: D3D700BC 0EF34920
	v_mfma_i32_16x16x32_i8 v[188:191], a[34:35], v[166:167], v[188:191]// 000000006AA4: D3D700BC 0EF34D22
	v_mfma_i32_16x16x32_i8 v[192:195], a[36:37], v[136:137], v[192:195]// 000000006AAC: D3D700C0 0F031124
	v_mfma_i32_16x16x32_i8 v[192:195], a[38:39], v[138:139], v[192:195]// 000000006AB4: D3D700C0 0F031526
	buffer_load_dwordx4 a[148:151], v42, s[12:15], 0 offen     // 000000006ABC: E05C1000 8083942A
	v_mfma_i32_16x16x32_i8 v[196:199], a[36:37], v[164:165], v[196:199]// 000000006AC4: D3D700C4 0F134924
	v_mfma_i32_16x16x32_i8 v[196:199], a[38:39], v[166:167], v[196:199]// 000000006ACC: D3D700C4 0F134D26
	v_mfma_i32_16x16x32_i8 v[200:203], a[40:41], v[136:137], v[200:203]// 000000006AD4: D3D700C8 0F231128
	v_mfma_i32_16x16x32_i8 v[200:203], a[42:43], v[138:139], v[200:203]// 000000006ADC: D3D700C8 0F23152A
	buffer_load_dwordx4 a[152:155], v43, s[12:15], 0 offen     // 000000006AE4: E05C1000 8083982B
	v_mfma_i32_16x16x32_i8 v[204:207], a[40:41], v[164:165], v[204:207]// 000000006AEC: D3D700CC 0F334928
	v_mfma_i32_16x16x32_i8 v[204:207], a[42:43], v[166:167], v[204:207]// 000000006AF4: D3D700CC 0F334D2A
	v_mfma_i32_16x16x32_i8 v[208:211], a[44:45], v[136:137], v[208:211]// 000000006AFC: D3D700D0 0F43112C
	v_mfma_i32_16x16x32_i8 v[208:211], a[46:47], v[138:139], v[208:211]// 000000006B04: D3D700D0 0F43152E
	buffer_load_dwordx4 a[156:159], v44, s[12:15], 0 offen     // 000000006B0C: E05C1000 80839C2C
	s_add_u32 s12, s78, s12                                    // 000000006B14: 800C0C4E
	s_addc_u32 s13, 0, s13                                     // 000000006B18: 820D0D80
	v_mfma_i32_16x16x32_i8 v[212:215], a[44:45], v[164:165], v[212:215]// 000000006B1C: D3D700D4 0F53492C
	v_mfma_i32_16x16x32_i8 v[212:215], a[46:47], v[166:167], v[212:215]// 000000006B24: D3D700D4 0F534D2E
	s_waitcnt vmcnt(41)                                        // 000000006B2C: BF8C8F79
	v_mfma_i32_16x16x32_i8 v[184:187], a[48:49], v[140:141], v[184:187]// 000000006B30: D3D700B8 0EE31930
	v_mfma_i32_16x16x32_i8 v[184:187], a[50:51], v[142:143], v[184:187]// 000000006B38: D3D700B8 0EE31D32
	buffer_load_dwordx4 a[160:163], v41, s[12:15], 0 offen     // 000000006B40: E05C1000 8083A029
	v_mfma_i32_16x16x32_i8 v[188:191], a[48:49], v[168:169], v[188:191]// 000000006B48: D3D700BC 0EF35130
	v_mfma_i32_16x16x32_i8 v[188:191], a[50:51], v[170:171], v[188:191]// 000000006B50: D3D700BC 0EF35532
	v_mfma_i32_16x16x32_i8 v[192:195], a[52:53], v[140:141], v[192:195]// 000000006B58: D3D700C0 0F031934
	v_mfma_i32_16x16x32_i8 v[192:195], a[54:55], v[142:143], v[192:195]// 000000006B60: D3D700C0 0F031D36
	buffer_load_dwordx4 a[164:167], v42, s[12:15], 0 offen     // 000000006B68: E05C1000 8083A42A
	v_mfma_i32_16x16x32_i8 v[196:199], a[52:53], v[168:169], v[196:199]// 000000006B70: D3D700C4 0F135134
	v_mfma_i32_16x16x32_i8 v[196:199], a[54:55], v[170:171], v[196:199]// 000000006B78: D3D700C4 0F135536
	v_mfma_i32_16x16x32_i8 v[200:203], a[56:57], v[140:141], v[200:203]// 000000006B80: D3D700C8 0F231938
	v_mfma_i32_16x16x32_i8 v[200:203], a[58:59], v[142:143], v[200:203]// 000000006B88: D3D700C8 0F231D3A
	buffer_load_dwordx4 a[168:171], v43, s[12:15], 0 offen     // 000000006B90: E05C1000 8083A82B
	v_mfma_i32_16x16x32_i8 v[204:207], a[56:57], v[168:169], v[204:207]// 000000006B98: D3D700CC 0F335138
	v_mfma_i32_16x16x32_i8 v[204:207], a[58:59], v[170:171], v[204:207]// 000000006BA0: D3D700CC 0F33553A
	v_mfma_i32_16x16x32_i8 v[208:211], a[60:61], v[140:141], v[208:211]// 000000006BA8: D3D700D0 0F43193C
	v_mfma_i32_16x16x32_i8 v[208:211], a[62:63], v[142:143], v[208:211]// 000000006BB0: D3D700D0 0F431D3E
	buffer_load_dwordx4 a[172:175], v44, s[12:15], 0 offen     // 000000006BB8: E05C1000 8083AC2C
	s_add_u32 s12, s78, s12                                    // 000000006BC0: 800C0C4E
	s_addc_u32 s13, 0, s13                                     // 000000006BC4: 820D0D80
	v_mfma_i32_16x16x32_i8 v[212:215], a[60:61], v[168:169], v[212:215]// 000000006BC8: D3D700D4 0F53513C
	v_mfma_i32_16x16x32_i8 v[212:215], a[62:63], v[170:171], v[212:215]// 000000006BD0: D3D700D4 0F53553E
	s_waitcnt vmcnt(41)                                        // 000000006BD8: BF8C8F79
	v_mfma_i32_16x16x32_i8 v[184:187], a[64:65], v[144:145], v[184:187]// 000000006BDC: D3D700B8 0EE32140
	v_mfma_i32_16x16x32_i8 v[184:187], a[66:67], v[146:147], v[184:187]// 000000006BE4: D3D700B8 0EE32542
	buffer_load_dwordx4 a[176:179], v41, s[12:15], 0 offen     // 000000006BEC: E05C1000 8083B029
	v_mfma_i32_16x16x32_i8 v[188:191], a[64:65], v[172:173], v[188:191]// 000000006BF4: D3D700BC 0EF35940
	v_mfma_i32_16x16x32_i8 v[188:191], a[66:67], v[174:175], v[188:191]// 000000006BFC: D3D700BC 0EF35D42
	v_mfma_i32_16x16x32_i8 v[192:195], a[68:69], v[144:145], v[192:195]// 000000006C04: D3D700C0 0F032144
	v_mfma_i32_16x16x32_i8 v[192:195], a[70:71], v[146:147], v[192:195]// 000000006C0C: D3D700C0 0F032546
	buffer_load_dwordx4 a[180:183], v42, s[12:15], 0 offen     // 000000006C14: E05C1000 8083B42A
	v_mfma_i32_16x16x32_i8 v[196:199], a[68:69], v[172:173], v[196:199]// 000000006C1C: D3D700C4 0F135944
	v_mfma_i32_16x16x32_i8 v[196:199], a[70:71], v[174:175], v[196:199]// 000000006C24: D3D700C4 0F135D46
	v_mfma_i32_16x16x32_i8 v[200:203], a[72:73], v[144:145], v[200:203]// 000000006C2C: D3D700C8 0F232148
	v_mfma_i32_16x16x32_i8 v[200:203], a[74:75], v[146:147], v[200:203]// 000000006C34: D3D700C8 0F23254A
	buffer_load_dwordx4 a[184:187], v43, s[12:15], 0 offen     // 000000006C3C: E05C1000 8083B82B
	v_mfma_i32_16x16x32_i8 v[204:207], a[72:73], v[172:173], v[204:207]// 000000006C44: D3D700CC 0F335948
	v_mfma_i32_16x16x32_i8 v[204:207], a[74:75], v[174:175], v[204:207]// 000000006C4C: D3D700CC 0F335D4A
	v_mfma_i32_16x16x32_i8 v[208:211], a[76:77], v[144:145], v[208:211]// 000000006C54: D3D700D0 0F43214C
	v_mfma_i32_16x16x32_i8 v[208:211], a[78:79], v[146:147], v[208:211]// 000000006C5C: D3D700D0 0F43254E
	buffer_load_dwordx4 a[188:191], v44, s[12:15], 0 offen     // 000000006C64: E05C1000 8083BC2C
	s_add_u32 s12, s78, s12                                    // 000000006C6C: 800C0C4E
	s_addc_u32 s13, 0, s13                                     // 000000006C70: 820D0D80
	v_mfma_i32_16x16x32_i8 v[212:215], a[76:77], v[172:173], v[212:215]// 000000006C74: D3D700D4 0F53594C
	v_mfma_i32_16x16x32_i8 v[212:215], a[78:79], v[174:175], v[212:215]// 000000006C7C: D3D700D4 0F535D4E
	s_waitcnt vmcnt(41)                                        // 000000006C84: BF8C8F79
	v_mfma_i32_16x16x32_i8 v[184:187], a[80:81], v[148:149], v[184:187]// 000000006C88: D3D700B8 0EE32950
	v_mfma_i32_16x16x32_i8 v[184:187], a[82:83], v[150:151], v[184:187]// 000000006C90: D3D700B8 0EE32D52
	buffer_load_dwordx4 a[192:195], v41, s[12:15], 0 offen     // 000000006C98: E05C1000 8083C029
	v_mfma_i32_16x16x32_i8 v[188:191], a[80:81], v[176:177], v[188:191]// 000000006CA0: D3D700BC 0EF36150
	v_mfma_i32_16x16x32_i8 v[188:191], a[82:83], v[178:179], v[188:191]// 000000006CA8: D3D700BC 0EF36552
	v_mfma_i32_16x16x32_i8 v[192:195], a[84:85], v[148:149], v[192:195]// 000000006CB0: D3D700C0 0F032954
	v_mfma_i32_16x16x32_i8 v[192:195], a[86:87], v[150:151], v[192:195]// 000000006CB8: D3D700C0 0F032D56
	buffer_load_dwordx4 a[196:199], v42, s[12:15], 0 offen     // 000000006CC0: E05C1000 8083C42A
	v_mfma_i32_16x16x32_i8 v[196:199], a[84:85], v[176:177], v[196:199]// 000000006CC8: D3D700C4 0F136154
	v_mfma_i32_16x16x32_i8 v[196:199], a[86:87], v[178:179], v[196:199]// 000000006CD0: D3D700C4 0F136556
	v_mfma_i32_16x16x32_i8 v[200:203], a[88:89], v[148:149], v[200:203]// 000000006CD8: D3D700C8 0F232958
	v_mfma_i32_16x16x32_i8 v[200:203], a[90:91], v[150:151], v[200:203]// 000000006CE0: D3D700C8 0F232D5A
	buffer_load_dwordx4 a[200:203], v43, s[12:15], 0 offen     // 000000006CE8: E05C1000 8083C82B
	v_mfma_i32_16x16x32_i8 v[204:207], a[88:89], v[176:177], v[204:207]// 000000006CF0: D3D700CC 0F336158
	v_mfma_i32_16x16x32_i8 v[204:207], a[90:91], v[178:179], v[204:207]// 000000006CF8: D3D700CC 0F33655A
	v_mfma_i32_16x16x32_i8 v[208:211], a[92:93], v[148:149], v[208:211]// 000000006D00: D3D700D0 0F43295C
	v_mfma_i32_16x16x32_i8 v[208:211], a[94:95], v[150:151], v[208:211]// 000000006D08: D3D700D0 0F432D5E
	buffer_load_dwordx4 a[204:207], v44, s[12:15], 0 offen     // 000000006D10: E05C1000 8083CC2C
	s_add_u32 s12, s78, s12                                    // 000000006D18: 800C0C4E
	s_addc_u32 s13, 0, s13                                     // 000000006D1C: 820D0D80
	v_mfma_i32_16x16x32_i8 v[212:215], a[92:93], v[176:177], v[212:215]// 000000006D20: D3D700D4 0F53615C
	v_mfma_i32_16x16x32_i8 v[212:215], a[94:95], v[178:179], v[212:215]// 000000006D28: D3D700D4 0F53655E
	s_waitcnt vmcnt(40)                                        // 000000006D30: BF8C8F78
	v_mfma_i32_16x16x32_i8 v[184:187], a[96:97], v[152:153], v[184:187]// 000000006D34: D3D700B8 0EE33160
	v_mfma_i32_16x16x32_i8 v[184:187], a[98:99], v[154:155], v[184:187]// 000000006D3C: D3D700B8 0EE33562
	buffer_load_dwordx4 a[208:211], v41, s[12:15], 0 offen     // 000000006D44: E05C1000 8083D029
	v_mfma_i32_16x16x32_i8 v[188:191], a[96:97], v[180:181], v[188:191]// 000000006D4C: D3D700BC 0EF36960
	v_mfma_i32_16x16x32_i8 v[188:191], a[98:99], v[182:183], v[188:191]// 000000006D54: D3D700BC 0EF36D62
	buffer_load_dword v13, v5, s[16:19], 0 offen               // 000000006D5C: E0501000 80040D05
	v_mfma_i32_16x16x32_i8 v[192:195], a[100:101], v[152:153], v[192:195]// 000000006D64: D3D700C0 0F033164
	v_mfma_i32_16x16x32_i8 v[192:195], a[102:103], v[154:155], v[192:195]// 000000006D6C: D3D700C0 0F033566
	buffer_load_dwordx4 a[212:215], v42, s[12:15], 0 offen     // 000000006D74: E05C1000 8083D42A
	v_mfma_i32_16x16x32_i8 v[196:199], a[100:101], v[180:181], v[196:199]// 000000006D7C: D3D700C4 0F136964
	v_mfma_i32_16x16x32_i8 v[196:199], a[102:103], v[182:183], v[196:199]// 000000006D84: D3D700C4 0F136D66
	v_mfma_i32_16x16x32_i8 v[200:203], a[104:105], v[152:153], v[200:203]// 000000006D8C: D3D700C8 0F233168
	v_mfma_i32_16x16x32_i8 v[200:203], a[106:107], v[154:155], v[200:203]// 000000006D94: D3D700C8 0F23356A
	buffer_load_dwordx4 a[216:219], v43, s[12:15], 0 offen     // 000000006D9C: E05C1000 8083D82B
	v_mfma_i32_16x16x32_i8 v[204:207], a[104:105], v[180:181], v[204:207]// 000000006DA4: D3D700CC 0F336968
	v_mfma_i32_16x16x32_i8 v[204:207], a[106:107], v[182:183], v[204:207]// 000000006DAC: D3D700CC 0F336D6A
	v_mfma_i32_16x16x32_i8 v[208:211], a[108:109], v[152:153], v[208:211]// 000000006DB4: D3D700D0 0F43316C
	v_mfma_i32_16x16x32_i8 v[208:211], a[110:111], v[154:155], v[208:211]// 000000006DBC: D3D700D0 0F43356E
	buffer_load_dwordx4 a[220:223], v44, s[12:15], 0 offen     // 000000006DC4: E05C1000 8083DC2C
	v_mfma_i32_16x16x32_i8 v[212:215], a[108:109], v[180:181], v[212:215]// 000000006DCC: D3D700D4 0F53696C
	v_mfma_i32_16x16x32_i8 v[212:215], a[110:111], v[182:183], v[212:215]// 000000006DD4: D3D700D4 0F536D6E
	s_add_u32 s60, 0x200, s80                                  // 000000006DDC: 803C50FF 00000200
	s_cmp_lt_u32 s60, s81                                      // 000000006DE4: BF0A513C
	s_cselect_b32 s56, s56, 0                                  // 000000006DE8: 85388038
	s_cselect_b32 s78, s78, 0                                  // 000000006DEC: 854E804E
	s_cselect_b32 s79, s79, 0                                  // 000000006DF0: 854F804F
	s_add_u32 s12, s56, s12                                    // 000000006DF4: 800C0C38
	s_addc_u32 s13, 0, s13                                     // 000000006DF8: 820D0D80
	s_add_u32 s16, s79, s16                                    // 000000006DFC: 8010104F
	s_addc_u32 s17, 0, s17                                     // 000000006E00: 82111180
	v_cvt_f32_i32_e32 v184, v184                               // 000000006E04: 7F700BB8
	v_cvt_f32_i32_e32 v185, v185                               // 000000006E08: 7F720BB9
	v_cvt_f32_i32_e32 v186, v186                               // 000000006E0C: 7F740BBA
	v_cvt_f32_i32_e32 v187, v187                               // 000000006E10: 7F760BBB
	v_mul_f32_e32 v184, v24, v184                              // 000000006E14: 0B717118
	v_mul_f32_e32 v185, v24, v185                              // 000000006E18: 0B737318
	v_mul_f32_e32 v186, v24, v186                              // 000000006E1C: 0B757518
	v_mul_f32_e32 v187, v24, v187                              // 000000006E20: 0B777718
	v_mul_f32_dpp v184, v12, v184 row_newbcast:0 row_mask:0xf bank_mask:0xf// 000000006E24: 0B7170FA FF01500C
	v_mul_f32_dpp v185, v12, v185 row_newbcast:1 row_mask:0xf bank_mask:0xf// 000000006E2C: 0B7372FA FF01510C
	v_mul_f32_dpp v186, v12, v186 row_newbcast:2 row_mask:0xf bank_mask:0xf// 000000006E34: 0B7574FA FF01520C
	v_mul_f32_dpp v187, v12, v187 row_newbcast:3 row_mask:0xf bank_mask:0xf// 000000006E3C: 0B7776FA FF01530C
	v_mul_f32_e32 v184, v20, v184                              // 000000006E44: 0B717114
	v_mul_f32_e32 v185, v20, v185                              // 000000006E48: 0B737314
	v_mul_f32_e32 v186, v20, v186                              // 000000006E4C: 0B757514
	v_mul_f32_e32 v187, v20, v187                              // 000000006E50: 0B777714
	v_cvt_f32_i32_e32 v188, v188                               // 000000006E54: 7F780BBC
	v_cvt_f32_i32_e32 v189, v189                               // 000000006E58: 7F7A0BBD
	v_cvt_f32_i32_e32 v190, v190                               // 000000006E5C: 7F7C0BBE
	v_cvt_f32_i32_e32 v191, v191                               // 000000006E60: 7F7E0BBF
	v_mul_f32_e32 v188, v25, v188                              // 000000006E64: 0B797919
	v_mul_f32_e32 v189, v25, v189                              // 000000006E68: 0B7B7B19
	v_mul_f32_e32 v190, v25, v190                              // 000000006E6C: 0B7D7D19
	v_mul_f32_e32 v191, v25, v191                              // 000000006E70: 0B7F7F19
	v_mul_f32_dpp v188, v12, v188 row_newbcast:0 row_mask:0xf bank_mask:0xf// 000000006E74: 0B7978FA FF01500C
	v_mul_f32_dpp v189, v12, v189 row_newbcast:1 row_mask:0xf bank_mask:0xf// 000000006E7C: 0B7B7AFA FF01510C
	v_mul_f32_dpp v190, v12, v190 row_newbcast:2 row_mask:0xf bank_mask:0xf// 000000006E84: 0B7D7CFA FF01520C
	v_mul_f32_dpp v191, v12, v191 row_newbcast:3 row_mask:0xf bank_mask:0xf// 000000006E8C: 0B7F7EFA FF01530C
	v_mul_f32_e32 v188, v21, v188                              // 000000006E94: 0B797915
	v_mul_f32_e32 v189, v21, v189                              // 000000006E98: 0B7B7B15
	v_mul_f32_e32 v190, v21, v190                              // 000000006E9C: 0B7D7D15
	v_mul_f32_e32 v191, v21, v191                              // 000000006EA0: 0B7F7F15
	v_cvt_f32_i32_e32 v192, v192                               // 000000006EA4: 7F800BC0
	v_cvt_f32_i32_e32 v193, v193                               // 000000006EA8: 7F820BC1
	v_cvt_f32_i32_e32 v194, v194                               // 000000006EAC: 7F840BC2
	v_cvt_f32_i32_e32 v195, v195                               // 000000006EB0: 7F860BC3
	v_mul_f32_e32 v192, v24, v192                              // 000000006EB4: 0B818118
	v_mul_f32_e32 v193, v24, v193                              // 000000006EB8: 0B838318
	v_mul_f32_e32 v194, v24, v194                              // 000000006EBC: 0B858518
	v_mul_f32_e32 v195, v24, v195                              // 000000006EC0: 0B878718
	v_mul_f32_dpp v192, v12, v192 row_newbcast:4 row_mask:0xf bank_mask:0xf// 000000006EC4: 0B8180FA FF01540C
	v_mul_f32_dpp v193, v12, v193 row_newbcast:5 row_mask:0xf bank_mask:0xf// 000000006ECC: 0B8382FA FF01550C
	v_mul_f32_dpp v194, v12, v194 row_newbcast:6 row_mask:0xf bank_mask:0xf// 000000006ED4: 0B8584FA FF01560C
	v_mul_f32_dpp v195, v12, v195 row_newbcast:7 row_mask:0xf bank_mask:0xf// 000000006EDC: 0B8786FA FF01570C
	v_mul_f32_e32 v192, v20, v192                              // 000000006EE4: 0B818114
	v_mul_f32_e32 v193, v20, v193                              // 000000006EE8: 0B838314
	v_mul_f32_e32 v194, v20, v194                              // 000000006EEC: 0B858514
	v_mul_f32_e32 v195, v20, v195                              // 000000006EF0: 0B878714
	v_cvt_f32_i32_e32 v196, v196                               // 000000006EF4: 7F880BC4
	v_cvt_f32_i32_e32 v197, v197                               // 000000006EF8: 7F8A0BC5
	v_cvt_f32_i32_e32 v198, v198                               // 000000006EFC: 7F8C0BC6
	v_cvt_f32_i32_e32 v199, v199                               // 000000006F00: 7F8E0BC7
	v_mul_f32_e32 v196, v25, v196                              // 000000006F04: 0B898919
	v_mul_f32_e32 v197, v25, v197                              // 000000006F08: 0B8B8B19
	v_mul_f32_e32 v198, v25, v198                              // 000000006F0C: 0B8D8D19
	v_mul_f32_e32 v199, v25, v199                              // 000000006F10: 0B8F8F19
	v_mul_f32_dpp v196, v12, v196 row_newbcast:4 row_mask:0xf bank_mask:0xf// 000000006F14: 0B8988FA FF01540C
	v_mul_f32_dpp v197, v12, v197 row_newbcast:5 row_mask:0xf bank_mask:0xf// 000000006F1C: 0B8B8AFA FF01550C
	v_mul_f32_dpp v198, v12, v198 row_newbcast:6 row_mask:0xf bank_mask:0xf// 000000006F24: 0B8D8CFA FF01560C
	v_mul_f32_dpp v199, v12, v199 row_newbcast:7 row_mask:0xf bank_mask:0xf// 000000006F2C: 0B8F8EFA FF01570C
	v_mul_f32_e32 v196, v21, v196                              // 000000006F34: 0B898915
	v_mul_f32_e32 v197, v21, v197                              // 000000006F38: 0B8B8B15
	v_mul_f32_e32 v198, v21, v198                              // 000000006F3C: 0B8D8D15
	v_mul_f32_e32 v199, v21, v199                              // 000000006F40: 0B8F8F15
	v_cvt_f32_i32_e32 v200, v200                               // 000000006F44: 7F900BC8
	v_cvt_f32_i32_e32 v201, v201                               // 000000006F48: 7F920BC9
	v_cvt_f32_i32_e32 v202, v202                               // 000000006F4C: 7F940BCA
	v_cvt_f32_i32_e32 v203, v203                               // 000000006F50: 7F960BCB
	v_mul_f32_e32 v200, v24, v200                              // 000000006F54: 0B919118
	v_mul_f32_e32 v201, v24, v201                              // 000000006F58: 0B939318
	v_mul_f32_e32 v202, v24, v202                              // 000000006F5C: 0B959518
	v_mul_f32_e32 v203, v24, v203                              // 000000006F60: 0B979718
	v_mul_f32_dpp v200, v12, v200 row_newbcast:8 row_mask:0xf bank_mask:0xf// 000000006F64: 0B9190FA FF01580C
	v_mul_f32_dpp v201, v12, v201 row_newbcast:9 row_mask:0xf bank_mask:0xf// 000000006F6C: 0B9392FA FF01590C
	v_mul_f32_dpp v202, v12, v202 row_newbcast:10 row_mask:0xf bank_mask:0xf// 000000006F74: 0B9594FA FF015A0C
	v_mul_f32_dpp v203, v12, v203 row_newbcast:11 row_mask:0xf bank_mask:0xf// 000000006F7C: 0B9796FA FF015B0C
	v_mul_f32_e32 v200, v20, v200                              // 000000006F84: 0B919114
	v_mul_f32_e32 v201, v20, v201                              // 000000006F88: 0B939314
	v_mul_f32_e32 v202, v20, v202                              // 000000006F8C: 0B959514
	v_mul_f32_e32 v203, v20, v203                              // 000000006F90: 0B979714
	v_cvt_f32_i32_e32 v204, v204                               // 000000006F94: 7F980BCC
	v_cvt_f32_i32_e32 v205, v205                               // 000000006F98: 7F9A0BCD
	v_cvt_f32_i32_e32 v206, v206                               // 000000006F9C: 7F9C0BCE
	v_cvt_f32_i32_e32 v207, v207                               // 000000006FA0: 7F9E0BCF
	v_mul_f32_e32 v204, v25, v204                              // 000000006FA4: 0B999919
	v_mul_f32_e32 v205, v25, v205                              // 000000006FA8: 0B9B9B19
	v_mul_f32_e32 v206, v25, v206                              // 000000006FAC: 0B9D9D19
	v_mul_f32_e32 v207, v25, v207                              // 000000006FB0: 0B9F9F19
	v_mul_f32_dpp v204, v12, v204 row_newbcast:8 row_mask:0xf bank_mask:0xf// 000000006FB4: 0B9998FA FF01580C
	v_mul_f32_dpp v205, v12, v205 row_newbcast:9 row_mask:0xf bank_mask:0xf// 000000006FBC: 0B9B9AFA FF01590C
	v_mul_f32_dpp v206, v12, v206 row_newbcast:10 row_mask:0xf bank_mask:0xf// 000000006FC4: 0B9D9CFA FF015A0C
	v_mul_f32_dpp v207, v12, v207 row_newbcast:11 row_mask:0xf bank_mask:0xf// 000000006FCC: 0B9F9EFA FF015B0C
	v_mul_f32_e32 v204, v21, v204                              // 000000006FD4: 0B999915
	v_mul_f32_e32 v205, v21, v205                              // 000000006FD8: 0B9B9B15
	v_mul_f32_e32 v206, v21, v206                              // 000000006FDC: 0B9D9D15
	v_mul_f32_e32 v207, v21, v207                              // 000000006FE0: 0B9F9F15
	v_cvt_f32_i32_e32 v208, v208                               // 000000006FE4: 7FA00BD0
	v_cvt_f32_i32_e32 v209, v209                               // 000000006FE8: 7FA20BD1
	v_cvt_f32_i32_e32 v210, v210                               // 000000006FEC: 7FA40BD2
	v_cvt_f32_i32_e32 v211, v211                               // 000000006FF0: 7FA60BD3
	v_mul_f32_e32 v208, v24, v208                              // 000000006FF4: 0BA1A118
	v_mul_f32_e32 v209, v24, v209                              // 000000006FF8: 0BA3A318
	v_mul_f32_e32 v210, v24, v210                              // 000000006FFC: 0BA5A518
	v_mul_f32_e32 v211, v24, v211                              // 000000007000: 0BA7A718
	v_mul_f32_dpp v208, v12, v208 row_newbcast:12 row_mask:0xf bank_mask:0xf// 000000007004: 0BA1A0FA FF015C0C
	v_mul_f32_dpp v209, v12, v209 row_newbcast:13 row_mask:0xf bank_mask:0xf// 00000000700C: 0BA3A2FA FF015D0C
	v_mul_f32_dpp v210, v12, v210 row_newbcast:14 row_mask:0xf bank_mask:0xf// 000000007014: 0BA5A4FA FF015E0C
	v_mul_f32_dpp v211, v12, v211 row_newbcast:15 row_mask:0xf bank_mask:0xf// 00000000701C: 0BA7A6FA FF015F0C
	v_mul_f32_e32 v208, v20, v208                              // 000000007024: 0BA1A114
	v_mul_f32_e32 v209, v20, v209                              // 000000007028: 0BA3A314
	v_mul_f32_e32 v210, v20, v210                              // 00000000702C: 0BA5A514
	v_mul_f32_e32 v211, v20, v211                              // 000000007030: 0BA7A714
	v_cvt_f32_i32_e32 v212, v212                               // 000000007034: 7FA80BD4
	v_cvt_f32_i32_e32 v213, v213                               // 000000007038: 7FAA0BD5
	v_cvt_f32_i32_e32 v214, v214                               // 00000000703C: 7FAC0BD6
	v_cvt_f32_i32_e32 v215, v215                               // 000000007040: 7FAE0BD7
	v_mul_f32_e32 v212, v25, v212                              // 000000007044: 0BA9A919
	v_mul_f32_e32 v213, v25, v213                              // 000000007048: 0BABAB19
	v_mul_f32_e32 v214, v25, v214                              // 00000000704C: 0BADAD19
	v_mul_f32_e32 v215, v25, v215                              // 000000007050: 0BAFAF19
	v_mul_f32_dpp v212, v12, v212 row_newbcast:12 row_mask:0xf bank_mask:0xf// 000000007054: 0BA9A8FA FF015C0C
	v_mul_f32_dpp v213, v12, v213 row_newbcast:13 row_mask:0xf bank_mask:0xf// 00000000705C: 0BABAAFA FF015D0C
	v_mul_f32_dpp v214, v12, v214 row_newbcast:14 row_mask:0xf bank_mask:0xf// 000000007064: 0BADACFA FF015E0C
	v_mul_f32_dpp v215, v12, v215 row_newbcast:15 row_mask:0xf bank_mask:0xf// 00000000706C: 0BAFAEFA FF015F0C
	v_mul_f32_e32 v212, v21, v212                              // 000000007074: 0BA9A915
	v_mul_f32_e32 v213, v21, v213                              // 000000007078: 0BABAB15
	v_mul_f32_e32 v214, v21, v214                              // 00000000707C: 0BADAD15
	v_mul_f32_e32 v215, v21, v215                              // 000000007080: 0BAFAF15
	v_cmp_u_f32_e64 s[48:49], v184, v184                       // 000000007084: D0480030 000371B8
	v_add3_u32 v45, v184, v48, 1                               // 00000000708C: D1FF002D 020661B8
	v_cndmask_b32_e64 v52, v45, v47, s[48:49]                  // 000000007094: D1000034 00C25F2D
	v_cmp_u_f32_e64 s[48:49], v185, v185                       // 00000000709C: D0480030 000373B9
	v_add3_u32 v45, v185, v48, 1                               // 0000000070A4: D1FF002D 020661B9
	v_cndmask_b32_e64 v53, v45, v47, s[48:49]                  // 0000000070AC: D1000035 00C25F2D
	v_perm_b32 v184, v53, v52, s52                             // 0000000070B4: D1ED00B8 00D26935
	v_cmp_u_f32_e64 s[48:49], v186, v186                       // 0000000070BC: D0480030 000375BA
	v_add3_u32 v45, v186, v48, 1                               // 0000000070C4: D1FF002D 020661BA
	v_cndmask_b32_e64 v52, v45, v47, s[48:49]                  // 0000000070CC: D1000034 00C25F2D
	v_cmp_u_f32_e64 s[48:49], v187, v187                       // 0000000070D4: D0480030 000377BB
	v_add3_u32 v45, v187, v48, 1                               // 0000000070DC: D1FF002D 020661BB
	v_cndmask_b32_e64 v53, v45, v47, s[48:49]                  // 0000000070E4: D1000035 00C25F2D
	v_perm_b32 v185, v53, v52, s52                             // 0000000070EC: D1ED00B9 00D26935
	v_cmp_u_f32_e64 s[48:49], v188, v188                       // 0000000070F4: D0480030 000379BC
	v_add3_u32 v45, v188, v48, 1                               // 0000000070FC: D1FF002D 020661BC
	v_cndmask_b32_e64 v52, v45, v47, s[48:49]                  // 000000007104: D1000034 00C25F2D
	v_cmp_u_f32_e64 s[48:49], v189, v189                       // 00000000710C: D0480030 00037BBD
	v_add3_u32 v45, v189, v48, 1                               // 000000007114: D1FF002D 020661BD
	v_cndmask_b32_e64 v53, v45, v47, s[48:49]                  // 00000000711C: D1000035 00C25F2D
	v_perm_b32 v186, v53, v52, s52                             // 000000007124: D1ED00BA 00D26935
	v_cmp_u_f32_e64 s[48:49], v190, v190                       // 00000000712C: D0480030 00037DBE
	v_add3_u32 v45, v190, v48, 1                               // 000000007134: D1FF002D 020661BE
	v_cndmask_b32_e64 v52, v45, v47, s[48:49]                  // 00000000713C: D1000034 00C25F2D
	v_cmp_u_f32_e64 s[48:49], v191, v191                       // 000000007144: D0480030 00037FBF
	v_add3_u32 v45, v191, v48, 1                               // 00000000714C: D1FF002D 020661BF
	v_cndmask_b32_e64 v53, v45, v47, s[48:49]                  // 000000007154: D1000035 00C25F2D
	v_perm_b32 v187, v53, v52, s52                             // 00000000715C: D1ED00BB 00D26935
	v_cmp_u_f32_e64 s[48:49], v192, v192                       // 000000007164: D0480030 000381C0
	v_add3_u32 v45, v192, v48, 1                               // 00000000716C: D1FF002D 020661C0
	v_cndmask_b32_e64 v52, v45, v47, s[48:49]                  // 000000007174: D1000034 00C25F2D
	v_cmp_u_f32_e64 s[48:49], v193, v193                       // 00000000717C: D0480030 000383C1
	v_add3_u32 v45, v193, v48, 1                               // 000000007184: D1FF002D 020661C1
	v_cndmask_b32_e64 v53, v45, v47, s[48:49]                  // 00000000718C: D1000035 00C25F2D
	v_perm_b32 v188, v53, v52, s52                             // 000000007194: D1ED00BC 00D26935
	v_cmp_u_f32_e64 s[48:49], v194, v194                       // 00000000719C: D0480030 000385C2
	v_add3_u32 v45, v194, v48, 1                               // 0000000071A4: D1FF002D 020661C2
	v_cndmask_b32_e64 v52, v45, v47, s[48:49]                  // 0000000071AC: D1000034 00C25F2D
	v_cmp_u_f32_e64 s[48:49], v195, v195                       // 0000000071B4: D0480030 000387C3
	v_add3_u32 v45, v195, v48, 1                               // 0000000071BC: D1FF002D 020661C3
	v_cndmask_b32_e64 v53, v45, v47, s[48:49]                  // 0000000071C4: D1000035 00C25F2D
	v_perm_b32 v189, v53, v52, s52                             // 0000000071CC: D1ED00BD 00D26935
	v_cmp_u_f32_e64 s[48:49], v196, v196                       // 0000000071D4: D0480030 000389C4
	v_add3_u32 v45, v196, v48, 1                               // 0000000071DC: D1FF002D 020661C4
	v_cndmask_b32_e64 v52, v45, v47, s[48:49]                  // 0000000071E4: D1000034 00C25F2D
	v_cmp_u_f32_e64 s[48:49], v197, v197                       // 0000000071EC: D0480030 00038BC5
	v_add3_u32 v45, v197, v48, 1                               // 0000000071F4: D1FF002D 020661C5
	v_cndmask_b32_e64 v53, v45, v47, s[48:49]                  // 0000000071FC: D1000035 00C25F2D
	v_perm_b32 v190, v53, v52, s52                             // 000000007204: D1ED00BE 00D26935
	v_cmp_u_f32_e64 s[48:49], v198, v198                       // 00000000720C: D0480030 00038DC6
	v_add3_u32 v45, v198, v48, 1                               // 000000007214: D1FF002D 020661C6
	v_cndmask_b32_e64 v52, v45, v47, s[48:49]                  // 00000000721C: D1000034 00C25F2D
	v_cmp_u_f32_e64 s[48:49], v199, v199                       // 000000007224: D0480030 00038FC7
	v_add3_u32 v45, v199, v48, 1                               // 00000000722C: D1FF002D 020661C7
	v_cndmask_b32_e64 v53, v45, v47, s[48:49]                  // 000000007234: D1000035 00C25F2D
	v_perm_b32 v191, v53, v52, s52                             // 00000000723C: D1ED00BF 00D26935
	v_cmp_u_f32_e64 s[48:49], v200, v200                       // 000000007244: D0480030 000391C8
	v_add3_u32 v45, v200, v48, 1                               // 00000000724C: D1FF002D 020661C8
	v_cndmask_b32_e64 v52, v45, v47, s[48:49]                  // 000000007254: D1000034 00C25F2D
	v_cmp_u_f32_e64 s[48:49], v201, v201                       // 00000000725C: D0480030 000393C9
	v_add3_u32 v45, v201, v48, 1                               // 000000007264: D1FF002D 020661C9
	v_cndmask_b32_e64 v53, v45, v47, s[48:49]                  // 00000000726C: D1000035 00C25F2D
	v_perm_b32 v192, v53, v52, s52                             // 000000007274: D1ED00C0 00D26935
	v_cmp_u_f32_e64 s[48:49], v202, v202                       // 00000000727C: D0480030 000395CA
	v_add3_u32 v45, v202, v48, 1                               // 000000007284: D1FF002D 020661CA
	v_cndmask_b32_e64 v52, v45, v47, s[48:49]                  // 00000000728C: D1000034 00C25F2D
	v_cmp_u_f32_e64 s[48:49], v203, v203                       // 000000007294: D0480030 000397CB
	v_add3_u32 v45, v203, v48, 1                               // 00000000729C: D1FF002D 020661CB
	v_cndmask_b32_e64 v53, v45, v47, s[48:49]                  // 0000000072A4: D1000035 00C25F2D
	v_perm_b32 v193, v53, v52, s52                             // 0000000072AC: D1ED00C1 00D26935
	v_cmp_u_f32_e64 s[48:49], v204, v204                       // 0000000072B4: D0480030 000399CC
	v_add3_u32 v45, v204, v48, 1                               // 0000000072BC: D1FF002D 020661CC
	v_cndmask_b32_e64 v52, v45, v47, s[48:49]                  // 0000000072C4: D1000034 00C25F2D
	v_cmp_u_f32_e64 s[48:49], v205, v205                       // 0000000072CC: D0480030 00039BCD
	v_add3_u32 v45, v205, v48, 1                               // 0000000072D4: D1FF002D 020661CD
	v_cndmask_b32_e64 v53, v45, v47, s[48:49]                  // 0000000072DC: D1000035 00C25F2D
	v_perm_b32 v194, v53, v52, s52                             // 0000000072E4: D1ED00C2 00D26935
	v_cmp_u_f32_e64 s[48:49], v206, v206                       // 0000000072EC: D0480030 00039DCE
	v_add3_u32 v45, v206, v48, 1                               // 0000000072F4: D1FF002D 020661CE
	v_cndmask_b32_e64 v52, v45, v47, s[48:49]                  // 0000000072FC: D1000034 00C25F2D
	v_cmp_u_f32_e64 s[48:49], v207, v207                       // 000000007304: D0480030 00039FCF
	v_add3_u32 v45, v207, v48, 1                               // 00000000730C: D1FF002D 020661CF
	v_cndmask_b32_e64 v53, v45, v47, s[48:49]                  // 000000007314: D1000035 00C25F2D
	v_perm_b32 v195, v53, v52, s52                             // 00000000731C: D1ED00C3 00D26935
	v_cmp_u_f32_e64 s[48:49], v208, v208                       // 000000007324: D0480030 0003A1D0
	v_add3_u32 v45, v208, v48, 1                               // 00000000732C: D1FF002D 020661D0
	v_cndmask_b32_e64 v52, v45, v47, s[48:49]                  // 000000007334: D1000034 00C25F2D
	v_cmp_u_f32_e64 s[48:49], v209, v209                       // 00000000733C: D0480030 0003A3D1
	v_add3_u32 v45, v209, v48, 1                               // 000000007344: D1FF002D 020661D1
	v_cndmask_b32_e64 v53, v45, v47, s[48:49]                  // 00000000734C: D1000035 00C25F2D
	v_perm_b32 v196, v53, v52, s52                             // 000000007354: D1ED00C4 00D26935
	v_cmp_u_f32_e64 s[48:49], v210, v210                       // 00000000735C: D0480030 0003A5D2
	v_add3_u32 v45, v210, v48, 1                               // 000000007364: D1FF002D 020661D2
	v_cndmask_b32_e64 v52, v45, v47, s[48:49]                  // 00000000736C: D1000034 00C25F2D
	v_cmp_u_f32_e64 s[48:49], v211, v211                       // 000000007374: D0480030 0003A7D3
	v_add3_u32 v45, v211, v48, 1                               // 00000000737C: D1FF002D 020661D3
	v_cndmask_b32_e64 v53, v45, v47, s[48:49]                  // 000000007384: D1000035 00C25F2D
	v_perm_b32 v197, v53, v52, s52                             // 00000000738C: D1ED00C5 00D26935
	v_cmp_u_f32_e64 s[48:49], v212, v212                       // 000000007394: D0480030 0003A9D4
	v_add3_u32 v45, v212, v48, 1                               // 00000000739C: D1FF002D 020661D4
	v_cndmask_b32_e64 v52, v45, v47, s[48:49]                  // 0000000073A4: D1000034 00C25F2D
	v_cmp_u_f32_e64 s[48:49], v213, v213                       // 0000000073AC: D0480030 0003ABD5
	v_add3_u32 v45, v213, v48, 1                               // 0000000073B4: D1FF002D 020661D5
	v_cndmask_b32_e64 v53, v45, v47, s[48:49]                  // 0000000073BC: D1000035 00C25F2D
	v_perm_b32 v198, v53, v52, s52                             // 0000000073C4: D1ED00C6 00D26935
	v_cmp_u_f32_e64 s[48:49], v214, v214                       // 0000000073CC: D0480030 0003ADD6
	v_add3_u32 v45, v214, v48, 1                               // 0000000073D4: D1FF002D 020661D6
	v_cndmask_b32_e64 v52, v45, v47, s[48:49]                  // 0000000073DC: D1000034 00C25F2D
	v_cmp_u_f32_e64 s[48:49], v215, v215                       // 0000000073E4: D0480030 0003AFD7
	v_add3_u32 v45, v215, v48, 1                               // 0000000073EC: D1FF002D 020661D7
	v_cndmask_b32_e64 v53, v45, v47, s[48:49]                  // 0000000073F4: D1000035 00C25F2D
	v_perm_b32 v199, v53, v52, s52                             // 0000000073FC: D1ED00C7 00D26935
	ds_write_b64 v3, v[184:185] offset:33024                   // 000000007404: D89A8100 0000B803
	ds_write_b64 v3, v[186:187] offset:41728                   // 00000000740C: D89AA300 0000BA03
	ds_write_b64 v3, v[188:189] offset:35200                   // 000000007414: D89A8980 0000BC03
	ds_write_b64 v3, v[190:191] offset:43904                   // 00000000741C: D89AAB80 0000BE03
	ds_write_b64 v3, v[192:193] offset:37376                   // 000000007424: D89A9200 0000C003
	ds_write_b64 v3, v[194:195] offset:46080                   // 00000000742C: D89AB400 0000C203
	ds_write_b64 v3, v[196:197] offset:39552                   // 000000007434: D89A9A80 0000C403
	ds_write_b64 v3, v[198:199] offset:48256                   // 00000000743C: D89ABC80 0000C603
	s_waitcnt lgkmcnt(0)                                       // 000000007444: BF8CC07F
	s_barrier                                                  // 000000007448: BF8A0000
	ds_read_b32 v64, v4 offset:33024                           // 00000000744C: D86C8100 40000004
	ds_read_b32 v65, v4 offset:37376                           // 000000007454: D86C9200 41000004
	ds_read_b32 v66, v4 offset:33056                           // 00000000745C: D86C8120 42000004
	ds_read_b32 v67, v4 offset:37408                           // 000000007464: D86C9220 43000004
	ds_read_b32 v68, v4 offset:33088                           // 00000000746C: D86C8140 44000004
	ds_read_b32 v69, v4 offset:37440                           // 000000007474: D86C9240 45000004
	ds_read_b32 v70, v4 offset:33120                           // 00000000747C: D86C8160 46000004
	ds_read_b32 v71, v4 offset:37472                           // 000000007484: D86C9260 47000004
	ds_read_b32 v72, v4 offset:41728                           // 00000000748C: D86CA300 48000004
	ds_read_b32 v73, v4 offset:46080                           // 000000007494: D86CB400 49000004
	ds_read_b32 v74, v4 offset:41760                           // 00000000749C: D86CA320 4A000004
	ds_read_b32 v75, v4 offset:46112                           // 0000000074A4: D86CB420 4B000004
	ds_read_b32 v76, v4 offset:41792                           // 0000000074AC: D86CA340 4C000004
	ds_read_b32 v77, v4 offset:46144                           // 0000000074B4: D86CB440 4D000004
	ds_read_b32 v78, v4 offset:41824                           // 0000000074BC: D86CA360 4E000004
	ds_read_b32 v79, v4 offset:46176                           // 0000000074C4: D86CB460 4F000004
	s_waitcnt lgkmcnt(0)                                       // 0000000074CC: BF8CC07F
	s_mov_b64 exec, s[20:21]                                   // 0000000074D0: BEFE0114
	global_atomic_pk_add_bf16 v80, v64, s[8:9]                 // 0000000074D4: DD488000 00084050
	s_mov_b64 exec, s[36:37]                                   // 0000000074DC: BEFE0124
	s_mov_b64 exec, s[20:21]                                   // 0000000074E0: BEFE0114
	global_atomic_pk_add_bf16 v80, v65, s[8:9] offset:256      // 0000000074E4: DD488100 00084150
	s_mov_b64 exec, s[36:37]                                   // 0000000074EC: BEFE0124
	s_mov_b64 exec, s[22:23]                                   // 0000000074F0: BEFE0116
	global_atomic_pk_add_bf16 v82, v66, s[8:9]                 // 0000000074F4: DD488000 00084252
	s_mov_b64 exec, s[36:37]                                   // 0000000074FC: BEFE0124
	s_mov_b64 exec, s[22:23]                                   // 000000007500: BEFE0116
	global_atomic_pk_add_bf16 v82, v67, s[8:9] offset:256      // 000000007504: DD488100 00084352
	s_mov_b64 exec, s[36:37]                                   // 00000000750C: BEFE0124
	s_mov_b64 exec, s[24:25]                                   // 000000007510: BEFE0118
	global_atomic_pk_add_bf16 v84, v68, s[8:9]                 // 000000007514: DD488000 00084454
	s_mov_b64 exec, s[36:37]                                   // 00000000751C: BEFE0124
	s_mov_b64 exec, s[24:25]                                   // 000000007520: BEFE0118
	global_atomic_pk_add_bf16 v84, v69, s[8:9] offset:256      // 000000007524: DD488100 00084554
	s_mov_b64 exec, s[36:37]                                   // 00000000752C: BEFE0124
	s_mov_b64 exec, s[26:27]                                   // 000000007530: BEFE011A
	global_atomic_pk_add_bf16 v86, v70, s[8:9]                 // 000000007534: DD488000 00084656
	s_mov_b64 exec, s[36:37]                                   // 00000000753C: BEFE0124
	s_mov_b64 exec, s[26:27]                                   // 000000007540: BEFE011A
	global_atomic_pk_add_bf16 v86, v71, s[8:9] offset:256      // 000000007544: DD488100 00084756
	s_mov_b64 exec, s[36:37]                                   // 00000000754C: BEFE0124
	s_mov_b64 exec, s[28:29]                                   // 000000007550: BEFE011C
	global_atomic_pk_add_bf16 v88, v72, s[8:9]                 // 000000007554: DD488000 00084858
	s_mov_b64 exec, s[36:37]                                   // 00000000755C: BEFE0124
	s_mov_b64 exec, s[28:29]                                   // 000000007560: BEFE011C
	global_atomic_pk_add_bf16 v88, v73, s[8:9] offset:256      // 000000007564: DD488100 00084958
	s_mov_b64 exec, s[36:37]                                   // 00000000756C: BEFE0124
	s_mov_b64 exec, s[30:31]                                   // 000000007570: BEFE011E
	global_atomic_pk_add_bf16 v90, v74, s[8:9]                 // 000000007574: DD488000 00084A5A
	s_mov_b64 exec, s[36:37]                                   // 00000000757C: BEFE0124
	s_mov_b64 exec, s[30:31]                                   // 000000007580: BEFE011E
	global_atomic_pk_add_bf16 v90, v75, s[8:9] offset:256      // 000000007584: DD488100 00084B5A
	s_mov_b64 exec, s[36:37]                                   // 00000000758C: BEFE0124
	s_mov_b64 exec, s[32:33]                                   // 000000007590: BEFE0120
	global_atomic_pk_add_bf16 v92, v76, s[8:9]                 // 000000007594: DD488000 00084C5C
	s_mov_b64 exec, s[36:37]                                   // 00000000759C: BEFE0124
	s_mov_b64 exec, s[32:33]                                   // 0000000075A0: BEFE0120
	global_atomic_pk_add_bf16 v92, v77, s[8:9] offset:256      // 0000000075A4: DD488100 00084D5C
	s_mov_b64 exec, s[36:37]                                   // 0000000075AC: BEFE0124
	s_mov_b64 exec, s[34:35]                                   // 0000000075B0: BEFE0122
	global_atomic_pk_add_bf16 v94, v78, s[8:9]                 // 0000000075B4: DD488000 00084E5E
	s_mov_b64 exec, s[36:37]                                   // 0000000075BC: BEFE0124
	s_mov_b64 exec, s[34:35]                                   // 0000000075C0: BEFE0122
	global_atomic_pk_add_bf16 v94, v79, s[8:9] offset:256      // 0000000075C4: DD488100 00084F5E
	s_mov_b64 exec, s[36:37]                                   // 0000000075CC: BEFE0124
	s_add_u32 s8, s59, s8                                      // 0000000075D0: 8008083B
	s_addc_u32 s9, 0, s9                                       // 0000000075D4: 82090980
	s_addk_i32 s80, 0x100                                      // 0000000075D8: B7500100
	s_cmp_lt_i32 s80, s81                                      // 0000000075DC: BF045150
	s_cbranch_scc0 label_152A                                  // 0000000075E0: BF840331
	s_waitcnt vmcnt(41)                                        // 0000000075E4: BF8C8F79
	s_barrier                                                  // 0000000075E8: BF8A0000
	v_mfma_i32_16x16x32_i8 v[216:219], a[112:113], v[128:129], 0// 0000000075EC: D3D700D8 0A030170
	v_mfma_i32_16x16x32_i8 v[216:219], a[114:115], v[130:131], v[216:219]// 0000000075F4: D3D700D8 0F630572
	buffer_load_dwordx4 a[0:3], v41, s[12:15], 0 offen         // 0000000075FC: E05C1000 80830029
	v_mfma_i32_16x16x32_i8 v[220:223], a[112:113], v[156:157], 0// 000000007604: D3D700DC 0A033970
	v_mfma_i32_16x16x32_i8 v[220:223], a[114:115], v[158:159], v[220:223]// 00000000760C: D3D700DC 0F733D72
	v_mfma_i32_16x16x32_i8 v[224:227], a[116:117], v[128:129], 0// 000000007614: D3D700E0 0A030174
	v_mfma_i32_16x16x32_i8 v[224:227], a[118:119], v[130:131], v[224:227]// 00000000761C: D3D700E0 0F830576
	buffer_load_dwordx4 a[4:7], v42, s[12:15], 0 offen         // 000000007624: E05C1000 8083042A
	v_mfma_i32_16x16x32_i8 v[228:231], a[116:117], v[156:157], 0// 00000000762C: D3D700E4 0A033974
	v_mfma_i32_16x16x32_i8 v[228:231], a[118:119], v[158:159], v[228:231]// 000000007634: D3D700E4 0F933D76
	v_mfma_i32_16x16x32_i8 v[232:235], a[120:121], v[128:129], 0// 00000000763C: D3D700E8 0A030178
	v_mfma_i32_16x16x32_i8 v[232:235], a[122:123], v[130:131], v[232:235]// 000000007644: D3D700E8 0FA3057A
	buffer_load_dwordx4 a[8:11], v43, s[12:15], 0 offen        // 00000000764C: E05C1000 8083082B
	v_mfma_i32_16x16x32_i8 v[236:239], a[120:121], v[156:157], 0// 000000007654: D3D700EC 0A033978
	v_mfma_i32_16x16x32_i8 v[236:239], a[122:123], v[158:159], v[236:239]// 00000000765C: D3D700EC 0FB33D7A
	v_mfma_i32_16x16x32_i8 v[240:243], a[124:125], v[128:129], 0// 000000007664: D3D700F0 0A03017C
	v_mfma_i32_16x16x32_i8 v[240:243], a[126:127], v[130:131], v[240:243]// 00000000766C: D3D700F0 0FC3057E
	buffer_load_dwordx4 a[12:15], v44, s[12:15], 0 offen       // 000000007674: E05C1000 80830C2C
	s_add_u32 s12, s78, s12                                    // 00000000767C: 800C0C4E
	s_addc_u32 s13, 0, s13                                     // 000000007680: 820D0D80
	v_mfma_i32_16x16x32_i8 v[244:247], a[124:125], v[156:157], 0// 000000007684: D3D700F4 0A03397C
	v_mfma_i32_16x16x32_i8 v[244:247], a[126:127], v[158:159], v[244:247]// 00000000768C: D3D700F4 0FD33D7E
	s_waitcnt vmcnt(41)                                        // 000000007694: BF8C8F79
	v_mfma_i32_16x16x32_i8 v[216:219], a[128:129], v[132:133], v[216:219]// 000000007698: D3D700D8 0F630980
	v_mfma_i32_16x16x32_i8 v[216:219], a[130:131], v[134:135], v[216:219]// 0000000076A0: D3D700D8 0F630D82
	buffer_load_dwordx4 a[16:19], v41, s[12:15], 0 offen       // 0000000076A8: E05C1000 80831029
	v_mfma_i32_16x16x32_i8 v[220:223], a[128:129], v[160:161], v[220:223]// 0000000076B0: D3D700DC 0F734180
	v_mfma_i32_16x16x32_i8 v[220:223], a[130:131], v[162:163], v[220:223]// 0000000076B8: D3D700DC 0F734582
	v_mfma_i32_16x16x32_i8 v[224:227], a[132:133], v[132:133], v[224:227]// 0000000076C0: D3D700E0 0F830984
	v_mfma_i32_16x16x32_i8 v[224:227], a[134:135], v[134:135], v[224:227]// 0000000076C8: D3D700E0 0F830D86
	buffer_load_dwordx4 a[20:23], v42, s[12:15], 0 offen       // 0000000076D0: E05C1000 8083142A
	v_mfma_i32_16x16x32_i8 v[228:231], a[132:133], v[160:161], v[228:231]// 0000000076D8: D3D700E4 0F934184
	v_mfma_i32_16x16x32_i8 v[228:231], a[134:135], v[162:163], v[228:231]// 0000000076E0: D3D700E4 0F934586
	v_mfma_i32_16x16x32_i8 v[232:235], a[136:137], v[132:133], v[232:235]// 0000000076E8: D3D700E8 0FA30988
	v_mfma_i32_16x16x32_i8 v[232:235], a[138:139], v[134:135], v[232:235]// 0000000076F0: D3D700E8 0FA30D8A
	buffer_load_dwordx4 a[24:27], v43, s[12:15], 0 offen       // 0000000076F8: E05C1000 8083182B
	v_mfma_i32_16x16x32_i8 v[236:239], a[136:137], v[160:161], v[236:239]// 000000007700: D3D700EC 0FB34188
	v_mfma_i32_16x16x32_i8 v[236:239], a[138:139], v[162:163], v[236:239]// 000000007708: D3D700EC 0FB3458A
	v_mfma_i32_16x16x32_i8 v[240:243], a[140:141], v[132:133], v[240:243]// 000000007710: D3D700F0 0FC3098C
	v_mfma_i32_16x16x32_i8 v[240:243], a[142:143], v[134:135], v[240:243]// 000000007718: D3D700F0 0FC30D8E
	buffer_load_dwordx4 a[28:31], v44, s[12:15], 0 offen       // 000000007720: E05C1000 80831C2C
	s_add_u32 s12, s78, s12                                    // 000000007728: 800C0C4E
	s_addc_u32 s13, 0, s13                                     // 00000000772C: 820D0D80
	v_mfma_i32_16x16x32_i8 v[244:247], a[140:141], v[160:161], v[244:247]// 000000007730: D3D700F4 0FD3418C
	v_mfma_i32_16x16x32_i8 v[244:247], a[142:143], v[162:163], v[244:247]// 000000007738: D3D700F4 0FD3458E
	s_waitcnt vmcnt(41)                                        // 000000007740: BF8C8F79
	v_mfma_i32_16x16x32_i8 v[216:219], a[144:145], v[136:137], v[216:219]// 000000007744: D3D700D8 0F631190
	v_mfma_i32_16x16x32_i8 v[216:219], a[146:147], v[138:139], v[216:219]// 00000000774C: D3D700D8 0F631592
	buffer_load_dwordx4 a[32:35], v41, s[12:15], 0 offen       // 000000007754: E05C1000 80832029
	v_mfma_i32_16x16x32_i8 v[220:223], a[144:145], v[164:165], v[220:223]// 00000000775C: D3D700DC 0F734990
	v_mfma_i32_16x16x32_i8 v[220:223], a[146:147], v[166:167], v[220:223]// 000000007764: D3D700DC 0F734D92
	v_mfma_i32_16x16x32_i8 v[224:227], a[148:149], v[136:137], v[224:227]// 00000000776C: D3D700E0 0F831194
	v_mfma_i32_16x16x32_i8 v[224:227], a[150:151], v[138:139], v[224:227]// 000000007774: D3D700E0 0F831596
	buffer_load_dwordx4 a[36:39], v42, s[12:15], 0 offen       // 00000000777C: E05C1000 8083242A
	v_mfma_i32_16x16x32_i8 v[228:231], a[148:149], v[164:165], v[228:231]// 000000007784: D3D700E4 0F934994
	v_mfma_i32_16x16x32_i8 v[228:231], a[150:151], v[166:167], v[228:231]// 00000000778C: D3D700E4 0F934D96
	v_mfma_i32_16x16x32_i8 v[232:235], a[152:153], v[136:137], v[232:235]// 000000007794: D3D700E8 0FA31198
	v_mfma_i32_16x16x32_i8 v[232:235], a[154:155], v[138:139], v[232:235]// 00000000779C: D3D700E8 0FA3159A
	buffer_load_dwordx4 a[40:43], v43, s[12:15], 0 offen       // 0000000077A4: E05C1000 8083282B
	v_mfma_i32_16x16x32_i8 v[236:239], a[152:153], v[164:165], v[236:239]// 0000000077AC: D3D700EC 0FB34998
	v_mfma_i32_16x16x32_i8 v[236:239], a[154:155], v[166:167], v[236:239]// 0000000077B4: D3D700EC 0FB34D9A
	v_mfma_i32_16x16x32_i8 v[240:243], a[156:157], v[136:137], v[240:243]// 0000000077BC: D3D700F0 0FC3119C
	v_mfma_i32_16x16x32_i8 v[240:243], a[158:159], v[138:139], v[240:243]// 0000000077C4: D3D700F0 0FC3159E
	buffer_load_dwordx4 a[44:47], v44, s[12:15], 0 offen       // 0000000077CC: E05C1000 80832C2C
	s_add_u32 s12, s78, s12                                    // 0000000077D4: 800C0C4E
	s_addc_u32 s13, 0, s13                                     // 0000000077D8: 820D0D80
	v_mfma_i32_16x16x32_i8 v[244:247], a[156:157], v[164:165], v[244:247]// 0000000077DC: D3D700F4 0FD3499C
	v_mfma_i32_16x16x32_i8 v[244:247], a[158:159], v[166:167], v[244:247]// 0000000077E4: D3D700F4 0FD34D9E
	s_waitcnt vmcnt(41)                                        // 0000000077EC: BF8C8F79
	v_mfma_i32_16x16x32_i8 v[216:219], a[160:161], v[140:141], v[216:219]// 0000000077F0: D3D700D8 0F6319A0
	v_mfma_i32_16x16x32_i8 v[216:219], a[162:163], v[142:143], v[216:219]// 0000000077F8: D3D700D8 0F631DA2
	buffer_load_dwordx4 a[48:51], v41, s[12:15], 0 offen       // 000000007800: E05C1000 80833029
	v_mfma_i32_16x16x32_i8 v[220:223], a[160:161], v[168:169], v[220:223]// 000000007808: D3D700DC 0F7351A0
	v_mfma_i32_16x16x32_i8 v[220:223], a[162:163], v[170:171], v[220:223]// 000000007810: D3D700DC 0F7355A2
	v_mfma_i32_16x16x32_i8 v[224:227], a[164:165], v[140:141], v[224:227]// 000000007818: D3D700E0 0F8319A4
	v_mfma_i32_16x16x32_i8 v[224:227], a[166:167], v[142:143], v[224:227]// 000000007820: D3D700E0 0F831DA6
	buffer_load_dwordx4 a[52:55], v42, s[12:15], 0 offen       // 000000007828: E05C1000 8083342A
	v_mfma_i32_16x16x32_i8 v[228:231], a[164:165], v[168:169], v[228:231]// 000000007830: D3D700E4 0F9351A4
	v_mfma_i32_16x16x32_i8 v[228:231], a[166:167], v[170:171], v[228:231]// 000000007838: D3D700E4 0F9355A6
	v_mfma_i32_16x16x32_i8 v[232:235], a[168:169], v[140:141], v[232:235]// 000000007840: D3D700E8 0FA319A8
	v_mfma_i32_16x16x32_i8 v[232:235], a[170:171], v[142:143], v[232:235]// 000000007848: D3D700E8 0FA31DAA
	buffer_load_dwordx4 a[56:59], v43, s[12:15], 0 offen       // 000000007850: E05C1000 8083382B
	v_mfma_i32_16x16x32_i8 v[236:239], a[168:169], v[168:169], v[236:239]// 000000007858: D3D700EC 0FB351A8
	v_mfma_i32_16x16x32_i8 v[236:239], a[170:171], v[170:171], v[236:239]// 000000007860: D3D700EC 0FB355AA
	v_mfma_i32_16x16x32_i8 v[240:243], a[172:173], v[140:141], v[240:243]// 000000007868: D3D700F0 0FC319AC
	v_mfma_i32_16x16x32_i8 v[240:243], a[174:175], v[142:143], v[240:243]// 000000007870: D3D700F0 0FC31DAE
	buffer_load_dwordx4 a[60:63], v44, s[12:15], 0 offen       // 000000007878: E05C1000 80833C2C
	s_add_u32 s12, s78, s12                                    // 000000007880: 800C0C4E
	s_addc_u32 s13, 0, s13                                     // 000000007884: 820D0D80
	v_mfma_i32_16x16x32_i8 v[244:247], a[172:173], v[168:169], v[244:247]// 000000007888: D3D700F4 0FD351AC
	v_mfma_i32_16x16x32_i8 v[244:247], a[174:175], v[170:171], v[244:247]// 000000007890: D3D700F4 0FD355AE
	s_waitcnt vmcnt(41)                                        // 000000007898: BF8C8F79
	v_mfma_i32_16x16x32_i8 v[216:219], a[176:177], v[144:145], v[216:219]// 00000000789C: D3D700D8 0F6321B0
	v_mfma_i32_16x16x32_i8 v[216:219], a[178:179], v[146:147], v[216:219]// 0000000078A4: D3D700D8 0F6325B2
	buffer_load_dwordx4 a[64:67], v41, s[12:15], 0 offen       // 0000000078AC: E05C1000 80834029
	v_mfma_i32_16x16x32_i8 v[220:223], a[176:177], v[172:173], v[220:223]// 0000000078B4: D3D700DC 0F7359B0
	v_mfma_i32_16x16x32_i8 v[220:223], a[178:179], v[174:175], v[220:223]// 0000000078BC: D3D700DC 0F735DB2
	v_mfma_i32_16x16x32_i8 v[224:227], a[180:181], v[144:145], v[224:227]// 0000000078C4: D3D700E0 0F8321B4
	v_mfma_i32_16x16x32_i8 v[224:227], a[182:183], v[146:147], v[224:227]// 0000000078CC: D3D700E0 0F8325B6
	buffer_load_dwordx4 a[68:71], v42, s[12:15], 0 offen       // 0000000078D4: E05C1000 8083442A
	v_mfma_i32_16x16x32_i8 v[228:231], a[180:181], v[172:173], v[228:231]// 0000000078DC: D3D700E4 0F9359B4
	v_mfma_i32_16x16x32_i8 v[228:231], a[182:183], v[174:175], v[228:231]// 0000000078E4: D3D700E4 0F935DB6
	v_mfma_i32_16x16x32_i8 v[232:235], a[184:185], v[144:145], v[232:235]// 0000000078EC: D3D700E8 0FA321B8
	v_mfma_i32_16x16x32_i8 v[232:235], a[186:187], v[146:147], v[232:235]// 0000000078F4: D3D700E8 0FA325BA
	buffer_load_dwordx4 a[72:75], v43, s[12:15], 0 offen       // 0000000078FC: E05C1000 8083482B
	v_mfma_i32_16x16x32_i8 v[236:239], a[184:185], v[172:173], v[236:239]// 000000007904: D3D700EC 0FB359B8
	v_mfma_i32_16x16x32_i8 v[236:239], a[186:187], v[174:175], v[236:239]// 00000000790C: D3D700EC 0FB35DBA
	v_mfma_i32_16x16x32_i8 v[240:243], a[188:189], v[144:145], v[240:243]// 000000007914: D3D700F0 0FC321BC
	v_mfma_i32_16x16x32_i8 v[240:243], a[190:191], v[146:147], v[240:243]// 00000000791C: D3D700F0 0FC325BE
	buffer_load_dwordx4 a[76:79], v44, s[12:15], 0 offen       // 000000007924: E05C1000 80834C2C
	s_add_u32 s12, s78, s12                                    // 00000000792C: 800C0C4E
	s_addc_u32 s13, 0, s13                                     // 000000007930: 820D0D80
	v_mfma_i32_16x16x32_i8 v[244:247], a[188:189], v[172:173], v[244:247]// 000000007934: D3D700F4 0FD359BC
	v_mfma_i32_16x16x32_i8 v[244:247], a[190:191], v[174:175], v[244:247]// 00000000793C: D3D700F4 0FD35DBE
	s_waitcnt vmcnt(41)                                        // 000000007944: BF8C8F79
	v_mfma_i32_16x16x32_i8 v[216:219], a[192:193], v[148:149], v[216:219]// 000000007948: D3D700D8 0F6329C0
	v_mfma_i32_16x16x32_i8 v[216:219], a[194:195], v[150:151], v[216:219]// 000000007950: D3D700D8 0F632DC2
	buffer_load_dwordx4 a[80:83], v41, s[12:15], 0 offen       // 000000007958: E05C1000 80835029
	v_mfma_i32_16x16x32_i8 v[220:223], a[192:193], v[176:177], v[220:223]// 000000007960: D3D700DC 0F7361C0
	v_mfma_i32_16x16x32_i8 v[220:223], a[194:195], v[178:179], v[220:223]// 000000007968: D3D700DC 0F7365C2
	v_mfma_i32_16x16x32_i8 v[224:227], a[196:197], v[148:149], v[224:227]// 000000007970: D3D700E0 0F8329C4
	v_mfma_i32_16x16x32_i8 v[224:227], a[198:199], v[150:151], v[224:227]// 000000007978: D3D700E0 0F832DC6
	buffer_load_dwordx4 a[84:87], v42, s[12:15], 0 offen       // 000000007980: E05C1000 8083542A
	v_mfma_i32_16x16x32_i8 v[228:231], a[196:197], v[176:177], v[228:231]// 000000007988: D3D700E4 0F9361C4
	v_mfma_i32_16x16x32_i8 v[228:231], a[198:199], v[178:179], v[228:231]// 000000007990: D3D700E4 0F9365C6
	v_mfma_i32_16x16x32_i8 v[232:235], a[200:201], v[148:149], v[232:235]// 000000007998: D3D700E8 0FA329C8
	v_mfma_i32_16x16x32_i8 v[232:235], a[202:203], v[150:151], v[232:235]// 0000000079A0: D3D700E8 0FA32DCA
	buffer_load_dwordx4 a[88:91], v43, s[12:15], 0 offen       // 0000000079A8: E05C1000 8083582B
	v_mfma_i32_16x16x32_i8 v[236:239], a[200:201], v[176:177], v[236:239]// 0000000079B0: D3D700EC 0FB361C8
	v_mfma_i32_16x16x32_i8 v[236:239], a[202:203], v[178:179], v[236:239]// 0000000079B8: D3D700EC 0FB365CA
	v_mfma_i32_16x16x32_i8 v[240:243], a[204:205], v[148:149], v[240:243]// 0000000079C0: D3D700F0 0FC329CC
	v_mfma_i32_16x16x32_i8 v[240:243], a[206:207], v[150:151], v[240:243]// 0000000079C8: D3D700F0 0FC32DCE
	buffer_load_dwordx4 a[92:95], v44, s[12:15], 0 offen       // 0000000079D0: E05C1000 80835C2C
	s_add_u32 s12, s78, s12                                    // 0000000079D8: 800C0C4E
	s_addc_u32 s13, 0, s13                                     // 0000000079DC: 820D0D80
	v_mfma_i32_16x16x32_i8 v[244:247], a[204:205], v[176:177], v[244:247]// 0000000079E0: D3D700F4 0FD361CC
	v_mfma_i32_16x16x32_i8 v[244:247], a[206:207], v[178:179], v[244:247]// 0000000079E8: D3D700F4 0FD365CE
	s_waitcnt vmcnt(40)                                        // 0000000079F0: BF8C8F78
	v_mfma_i32_16x16x32_i8 v[216:219], a[208:209], v[152:153], v[216:219]// 0000000079F4: D3D700D8 0F6331D0
	v_mfma_i32_16x16x32_i8 v[216:219], a[210:211], v[154:155], v[216:219]// 0000000079FC: D3D700D8 0F6335D2
	buffer_load_dwordx4 a[96:99], v41, s[12:15], 0 offen       // 000000007A04: E05C1000 80836029
	v_mfma_i32_16x16x32_i8 v[220:223], a[208:209], v[180:181], v[220:223]// 000000007A0C: D3D700DC 0F7369D0
	v_mfma_i32_16x16x32_i8 v[220:223], a[210:211], v[182:183], v[220:223]// 000000007A14: D3D700DC 0F736DD2
	buffer_load_dword v12, v5, s[16:19], 0 offen               // 000000007A1C: E0501000 80040C05
	v_mfma_i32_16x16x32_i8 v[224:227], a[212:213], v[152:153], v[224:227]// 000000007A24: D3D700E0 0F8331D4
	v_mfma_i32_16x16x32_i8 v[224:227], a[214:215], v[154:155], v[224:227]// 000000007A2C: D3D700E0 0F8335D6
	buffer_load_dwordx4 a[100:103], v42, s[12:15], 0 offen     // 000000007A34: E05C1000 8083642A
	v_mfma_i32_16x16x32_i8 v[228:231], a[212:213], v[180:181], v[228:231]// 000000007A3C: D3D700E4 0F9369D4
	v_mfma_i32_16x16x32_i8 v[228:231], a[214:215], v[182:183], v[228:231]// 000000007A44: D3D700E4 0F936DD6
	v_mfma_i32_16x16x32_i8 v[232:235], a[216:217], v[152:153], v[232:235]// 000000007A4C: D3D700E8 0FA331D8
	v_mfma_i32_16x16x32_i8 v[232:235], a[218:219], v[154:155], v[232:235]// 000000007A54: D3D700E8 0FA335DA
	buffer_load_dwordx4 a[104:107], v43, s[12:15], 0 offen     // 000000007A5C: E05C1000 8083682B
	v_mfma_i32_16x16x32_i8 v[236:239], a[216:217], v[180:181], v[236:239]// 000000007A64: D3D700EC 0FB369D8
	v_mfma_i32_16x16x32_i8 v[236:239], a[218:219], v[182:183], v[236:239]// 000000007A6C: D3D700EC 0FB36DDA
	v_mfma_i32_16x16x32_i8 v[240:243], a[220:221], v[152:153], v[240:243]// 000000007A74: D3D700F0 0FC331DC
	v_mfma_i32_16x16x32_i8 v[240:243], a[222:223], v[154:155], v[240:243]// 000000007A7C: D3D700F0 0FC335DE
	buffer_load_dwordx4 a[108:111], v44, s[12:15], 0 offen     // 000000007A84: E05C1000 80836C2C
	v_mfma_i32_16x16x32_i8 v[244:247], a[220:221], v[180:181], v[244:247]// 000000007A8C: D3D700F4 0FD369DC
	v_mfma_i32_16x16x32_i8 v[244:247], a[222:223], v[182:183], v[244:247]// 000000007A94: D3D700F4 0FD36DDE
	s_add_u32 s60, 0x200, s80                                  // 000000007A9C: 803C50FF 00000200
	s_cmp_lt_u32 s60, s81                                      // 000000007AA4: BF0A513C
	s_cselect_b32 s56, s56, 0                                  // 000000007AA8: 85388038
	s_cselect_b32 s78, s78, 0                                  // 000000007AAC: 854E804E
	s_cselect_b32 s79, s79, 0                                  // 000000007AB0: 854F804F
	s_add_u32 s12, s56, s12                                    // 000000007AB4: 800C0C38
	s_addc_u32 s13, 0, s13                                     // 000000007AB8: 820D0D80
	s_add_u32 s16, s79, s16                                    // 000000007ABC: 8010104F
	s_addc_u32 s17, 0, s17                                     // 000000007AC0: 82111180
	v_cvt_f32_i32_e32 v216, v216                               // 000000007AC4: 7FB00BD8
	v_cvt_f32_i32_e32 v217, v217                               // 000000007AC8: 7FB20BD9
	v_cvt_f32_i32_e32 v218, v218                               // 000000007ACC: 7FB40BDA
	v_cvt_f32_i32_e32 v219, v219                               // 000000007AD0: 7FB60BDB
	v_mul_f32_e32 v216, v24, v216                              // 000000007AD4: 0BB1B118
	v_mul_f32_e32 v217, v24, v217                              // 000000007AD8: 0BB3B318
	v_mul_f32_e32 v218, v24, v218                              // 000000007ADC: 0BB5B518
	v_mul_f32_e32 v219, v24, v219                              // 000000007AE0: 0BB7B718
	v_mul_f32_dpp v216, v13, v216 row_newbcast:0 row_mask:0xf bank_mask:0xf// 000000007AE4: 0BB1B0FA FF01500D
	v_mul_f32_dpp v217, v13, v217 row_newbcast:1 row_mask:0xf bank_mask:0xf// 000000007AEC: 0BB3B2FA FF01510D
	v_mul_f32_dpp v218, v13, v218 row_newbcast:2 row_mask:0xf bank_mask:0xf// 000000007AF4: 0BB5B4FA FF01520D
	v_mul_f32_dpp v219, v13, v219 row_newbcast:3 row_mask:0xf bank_mask:0xf// 000000007AFC: 0BB7B6FA FF01530D
	v_mul_f32_e32 v216, v20, v216                              // 000000007B04: 0BB1B114
	v_mul_f32_e32 v217, v20, v217                              // 000000007B08: 0BB3B314
	v_mul_f32_e32 v218, v20, v218                              // 000000007B0C: 0BB5B514
	v_mul_f32_e32 v219, v20, v219                              // 000000007B10: 0BB7B714
	v_cvt_f32_i32_e32 v220, v220                               // 000000007B14: 7FB80BDC
	v_cvt_f32_i32_e32 v221, v221                               // 000000007B18: 7FBA0BDD
	v_cvt_f32_i32_e32 v222, v222                               // 000000007B1C: 7FBC0BDE
	v_cvt_f32_i32_e32 v223, v223                               // 000000007B20: 7FBE0BDF
	v_mul_f32_e32 v220, v25, v220                              // 000000007B24: 0BB9B919
	v_mul_f32_e32 v221, v25, v221                              // 000000007B28: 0BBBBB19
	v_mul_f32_e32 v222, v25, v222                              // 000000007B2C: 0BBDBD19
	v_mul_f32_e32 v223, v25, v223                              // 000000007B30: 0BBFBF19
	v_mul_f32_dpp v220, v13, v220 row_newbcast:0 row_mask:0xf bank_mask:0xf// 000000007B34: 0BB9B8FA FF01500D
	v_mul_f32_dpp v221, v13, v221 row_newbcast:1 row_mask:0xf bank_mask:0xf// 000000007B3C: 0BBBBAFA FF01510D
	v_mul_f32_dpp v222, v13, v222 row_newbcast:2 row_mask:0xf bank_mask:0xf// 000000007B44: 0BBDBCFA FF01520D
	v_mul_f32_dpp v223, v13, v223 row_newbcast:3 row_mask:0xf bank_mask:0xf// 000000007B4C: 0BBFBEFA FF01530D
	v_mul_f32_e32 v220, v21, v220                              // 000000007B54: 0BB9B915
	v_mul_f32_e32 v221, v21, v221                              // 000000007B58: 0BBBBB15
	v_mul_f32_e32 v222, v21, v222                              // 000000007B5C: 0BBDBD15
	v_mul_f32_e32 v223, v21, v223                              // 000000007B60: 0BBFBF15
	v_cvt_f32_i32_e32 v224, v224                               // 000000007B64: 7FC00BE0
	v_cvt_f32_i32_e32 v225, v225                               // 000000007B68: 7FC20BE1
	v_cvt_f32_i32_e32 v226, v226                               // 000000007B6C: 7FC40BE2
	v_cvt_f32_i32_e32 v227, v227                               // 000000007B70: 7FC60BE3
	v_mul_f32_e32 v224, v24, v224                              // 000000007B74: 0BC1C118
	v_mul_f32_e32 v225, v24, v225                              // 000000007B78: 0BC3C318
	v_mul_f32_e32 v226, v24, v226                              // 000000007B7C: 0BC5C518
	v_mul_f32_e32 v227, v24, v227                              // 000000007B80: 0BC7C718
	v_mul_f32_dpp v224, v13, v224 row_newbcast:4 row_mask:0xf bank_mask:0xf// 000000007B84: 0BC1C0FA FF01540D
	v_mul_f32_dpp v225, v13, v225 row_newbcast:5 row_mask:0xf bank_mask:0xf// 000000007B8C: 0BC3C2FA FF01550D
	v_mul_f32_dpp v226, v13, v226 row_newbcast:6 row_mask:0xf bank_mask:0xf// 000000007B94: 0BC5C4FA FF01560D
	v_mul_f32_dpp v227, v13, v227 row_newbcast:7 row_mask:0xf bank_mask:0xf// 000000007B9C: 0BC7C6FA FF01570D
	v_mul_f32_e32 v224, v20, v224                              // 000000007BA4: 0BC1C114
	v_mul_f32_e32 v225, v20, v225                              // 000000007BA8: 0BC3C314
	v_mul_f32_e32 v226, v20, v226                              // 000000007BAC: 0BC5C514
	v_mul_f32_e32 v227, v20, v227                              // 000000007BB0: 0BC7C714
	v_cvt_f32_i32_e32 v228, v228                               // 000000007BB4: 7FC80BE4
	v_cvt_f32_i32_e32 v229, v229                               // 000000007BB8: 7FCA0BE5
	v_cvt_f32_i32_e32 v230, v230                               // 000000007BBC: 7FCC0BE6
	v_cvt_f32_i32_e32 v231, v231                               // 000000007BC0: 7FCE0BE7
	v_mul_f32_e32 v228, v25, v228                              // 000000007BC4: 0BC9C919
	v_mul_f32_e32 v229, v25, v229                              // 000000007BC8: 0BCBCB19
	v_mul_f32_e32 v230, v25, v230                              // 000000007BCC: 0BCDCD19
	v_mul_f32_e32 v231, v25, v231                              // 000000007BD0: 0BCFCF19
	v_mul_f32_dpp v228, v13, v228 row_newbcast:4 row_mask:0xf bank_mask:0xf// 000000007BD4: 0BC9C8FA FF01540D
	v_mul_f32_dpp v229, v13, v229 row_newbcast:5 row_mask:0xf bank_mask:0xf// 000000007BDC: 0BCBCAFA FF01550D
	v_mul_f32_dpp v230, v13, v230 row_newbcast:6 row_mask:0xf bank_mask:0xf// 000000007BE4: 0BCDCCFA FF01560D
	v_mul_f32_dpp v231, v13, v231 row_newbcast:7 row_mask:0xf bank_mask:0xf// 000000007BEC: 0BCFCEFA FF01570D
	v_mul_f32_e32 v228, v21, v228                              // 000000007BF4: 0BC9C915
	v_mul_f32_e32 v229, v21, v229                              // 000000007BF8: 0BCBCB15
	v_mul_f32_e32 v230, v21, v230                              // 000000007BFC: 0BCDCD15
	v_mul_f32_e32 v231, v21, v231                              // 000000007C00: 0BCFCF15
	v_cvt_f32_i32_e32 v232, v232                               // 000000007C04: 7FD00BE8
	v_cvt_f32_i32_e32 v233, v233                               // 000000007C08: 7FD20BE9
	v_cvt_f32_i32_e32 v234, v234                               // 000000007C0C: 7FD40BEA
	v_cvt_f32_i32_e32 v235, v235                               // 000000007C10: 7FD60BEB
	v_mul_f32_e32 v232, v24, v232                              // 000000007C14: 0BD1D118
	v_mul_f32_e32 v233, v24, v233                              // 000000007C18: 0BD3D318
	v_mul_f32_e32 v234, v24, v234                              // 000000007C1C: 0BD5D518
	v_mul_f32_e32 v235, v24, v235                              // 000000007C20: 0BD7D718
	v_mul_f32_dpp v232, v13, v232 row_newbcast:8 row_mask:0xf bank_mask:0xf// 000000007C24: 0BD1D0FA FF01580D
	v_mul_f32_dpp v233, v13, v233 row_newbcast:9 row_mask:0xf bank_mask:0xf// 000000007C2C: 0BD3D2FA FF01590D
	v_mul_f32_dpp v234, v13, v234 row_newbcast:10 row_mask:0xf bank_mask:0xf// 000000007C34: 0BD5D4FA FF015A0D
	v_mul_f32_dpp v235, v13, v235 row_newbcast:11 row_mask:0xf bank_mask:0xf// 000000007C3C: 0BD7D6FA FF015B0D
	v_mul_f32_e32 v232, v20, v232                              // 000000007C44: 0BD1D114
	v_mul_f32_e32 v233, v20, v233                              // 000000007C48: 0BD3D314
	v_mul_f32_e32 v234, v20, v234                              // 000000007C4C: 0BD5D514
	v_mul_f32_e32 v235, v20, v235                              // 000000007C50: 0BD7D714
	v_cvt_f32_i32_e32 v236, v236                               // 000000007C54: 7FD80BEC
	v_cvt_f32_i32_e32 v237, v237                               // 000000007C58: 7FDA0BED
	v_cvt_f32_i32_e32 v238, v238                               // 000000007C5C: 7FDC0BEE
	v_cvt_f32_i32_e32 v239, v239                               // 000000007C60: 7FDE0BEF
	v_mul_f32_e32 v236, v25, v236                              // 000000007C64: 0BD9D919
	v_mul_f32_e32 v237, v25, v237                              // 000000007C68: 0BDBDB19
	v_mul_f32_e32 v238, v25, v238                              // 000000007C6C: 0BDDDD19
	v_mul_f32_e32 v239, v25, v239                              // 000000007C70: 0BDFDF19
	v_mul_f32_dpp v236, v13, v236 row_newbcast:8 row_mask:0xf bank_mask:0xf// 000000007C74: 0BD9D8FA FF01580D
	v_mul_f32_dpp v237, v13, v237 row_newbcast:9 row_mask:0xf bank_mask:0xf// 000000007C7C: 0BDBDAFA FF01590D
	v_mul_f32_dpp v238, v13, v238 row_newbcast:10 row_mask:0xf bank_mask:0xf// 000000007C84: 0BDDDCFA FF015A0D
	v_mul_f32_dpp v239, v13, v239 row_newbcast:11 row_mask:0xf bank_mask:0xf// 000000007C8C: 0BDFDEFA FF015B0D
	v_mul_f32_e32 v236, v21, v236                              // 000000007C94: 0BD9D915
	v_mul_f32_e32 v237, v21, v237                              // 000000007C98: 0BDBDB15
	v_mul_f32_e32 v238, v21, v238                              // 000000007C9C: 0BDDDD15
	v_mul_f32_e32 v239, v21, v239                              // 000000007CA0: 0BDFDF15
	v_cvt_f32_i32_e32 v240, v240                               // 000000007CA4: 7FE00BF0
	v_cvt_f32_i32_e32 v241, v241                               // 000000007CA8: 7FE20BF1
	v_cvt_f32_i32_e32 v242, v242                               // 000000007CAC: 7FE40BF2
	v_cvt_f32_i32_e32 v243, v243                               // 000000007CB0: 7FE60BF3
	v_mul_f32_e32 v240, v24, v240                              // 000000007CB4: 0BE1E118
	v_mul_f32_e32 v241, v24, v241                              // 000000007CB8: 0BE3E318
	v_mul_f32_e32 v242, v24, v242                              // 000000007CBC: 0BE5E518
	v_mul_f32_e32 v243, v24, v243                              // 000000007CC0: 0BE7E718
	v_mul_f32_dpp v240, v13, v240 row_newbcast:12 row_mask:0xf bank_mask:0xf// 000000007CC4: 0BE1E0FA FF015C0D
	v_mul_f32_dpp v241, v13, v241 row_newbcast:13 row_mask:0xf bank_mask:0xf// 000000007CCC: 0BE3E2FA FF015D0D
	v_mul_f32_dpp v242, v13, v242 row_newbcast:14 row_mask:0xf bank_mask:0xf// 000000007CD4: 0BE5E4FA FF015E0D
	v_mul_f32_dpp v243, v13, v243 row_newbcast:15 row_mask:0xf bank_mask:0xf// 000000007CDC: 0BE7E6FA FF015F0D
	v_mul_f32_e32 v240, v20, v240                              // 000000007CE4: 0BE1E114
	v_mul_f32_e32 v241, v20, v241                              // 000000007CE8: 0BE3E314
	v_mul_f32_e32 v242, v20, v242                              // 000000007CEC: 0BE5E514
	v_mul_f32_e32 v243, v20, v243                              // 000000007CF0: 0BE7E714
	v_cvt_f32_i32_e32 v244, v244                               // 000000007CF4: 7FE80BF4
	v_cvt_f32_i32_e32 v245, v245                               // 000000007CF8: 7FEA0BF5
	v_cvt_f32_i32_e32 v246, v246                               // 000000007CFC: 7FEC0BF6
	v_cvt_f32_i32_e32 v247, v247                               // 000000007D00: 7FEE0BF7
	v_mul_f32_e32 v244, v25, v244                              // 000000007D04: 0BE9E919
	v_mul_f32_e32 v245, v25, v245                              // 000000007D08: 0BEBEB19
	v_mul_f32_e32 v246, v25, v246                              // 000000007D0C: 0BEDED19
	v_mul_f32_e32 v247, v25, v247                              // 000000007D10: 0BEFEF19
	v_mul_f32_dpp v244, v13, v244 row_newbcast:12 row_mask:0xf bank_mask:0xf// 000000007D14: 0BE9E8FA FF015C0D
	v_mul_f32_dpp v245, v13, v245 row_newbcast:13 row_mask:0xf bank_mask:0xf// 000000007D1C: 0BEBEAFA FF015D0D
	v_mul_f32_dpp v246, v13, v246 row_newbcast:14 row_mask:0xf bank_mask:0xf// 000000007D24: 0BEDECFA FF015E0D
	v_mul_f32_dpp v247, v13, v247 row_newbcast:15 row_mask:0xf bank_mask:0xf// 000000007D2C: 0BEFEEFA FF015F0D
	v_mul_f32_e32 v244, v21, v244                              // 000000007D34: 0BE9E915
	v_mul_f32_e32 v245, v21, v245                              // 000000007D38: 0BEBEB15
	v_mul_f32_e32 v246, v21, v246                              // 000000007D3C: 0BEDED15
	v_mul_f32_e32 v247, v21, v247                              // 000000007D40: 0BEFEF15
	v_cmp_u_f32_e64 s[48:49], v216, v216                       // 000000007D44: D0480030 0003B1D8
	v_add3_u32 v45, v216, v48, 1                               // 000000007D4C: D1FF002D 020661D8
	v_cndmask_b32_e64 v52, v45, v47, s[48:49]                  // 000000007D54: D1000034 00C25F2D
	v_cmp_u_f32_e64 s[48:49], v217, v217                       // 000000007D5C: D0480030 0003B3D9
	v_add3_u32 v45, v217, v48, 1                               // 000000007D64: D1FF002D 020661D9
	v_cndmask_b32_e64 v53, v45, v47, s[48:49]                  // 000000007D6C: D1000035 00C25F2D
	v_perm_b32 v216, v53, v52, s52                             // 000000007D74: D1ED00D8 00D26935
	v_cmp_u_f32_e64 s[48:49], v218, v218                       // 000000007D7C: D0480030 0003B5DA
	v_add3_u32 v45, v218, v48, 1                               // 000000007D84: D1FF002D 020661DA
	v_cndmask_b32_e64 v52, v45, v47, s[48:49]                  // 000000007D8C: D1000034 00C25F2D
	v_cmp_u_f32_e64 s[48:49], v219, v219                       // 000000007D94: D0480030 0003B7DB
	v_add3_u32 v45, v219, v48, 1                               // 000000007D9C: D1FF002D 020661DB
	v_cndmask_b32_e64 v53, v45, v47, s[48:49]                  // 000000007DA4: D1000035 00C25F2D
	v_perm_b32 v217, v53, v52, s52                             // 000000007DAC: D1ED00D9 00D26935
	v_cmp_u_f32_e64 s[48:49], v220, v220                       // 000000007DB4: D0480030 0003B9DC
	v_add3_u32 v45, v220, v48, 1                               // 000000007DBC: D1FF002D 020661DC
	v_cndmask_b32_e64 v52, v45, v47, s[48:49]                  // 000000007DC4: D1000034 00C25F2D
	v_cmp_u_f32_e64 s[48:49], v221, v221                       // 000000007DCC: D0480030 0003BBDD
	v_add3_u32 v45, v221, v48, 1                               // 000000007DD4: D1FF002D 020661DD
	v_cndmask_b32_e64 v53, v45, v47, s[48:49]                  // 000000007DDC: D1000035 00C25F2D
	v_perm_b32 v218, v53, v52, s52                             // 000000007DE4: D1ED00DA 00D26935
	v_cmp_u_f32_e64 s[48:49], v222, v222                       // 000000007DEC: D0480030 0003BDDE
	v_add3_u32 v45, v222, v48, 1                               // 000000007DF4: D1FF002D 020661DE
	v_cndmask_b32_e64 v52, v45, v47, s[48:49]                  // 000000007DFC: D1000034 00C25F2D
	v_cmp_u_f32_e64 s[48:49], v223, v223                       // 000000007E04: D0480030 0003BFDF
	v_add3_u32 v45, v223, v48, 1                               // 000000007E0C: D1FF002D 020661DF
	v_cndmask_b32_e64 v53, v45, v47, s[48:49]                  // 000000007E14: D1000035 00C25F2D
	v_perm_b32 v219, v53, v52, s52                             // 000000007E1C: D1ED00DB 00D26935
	v_cmp_u_f32_e64 s[48:49], v224, v224                       // 000000007E24: D0480030 0003C1E0
	v_add3_u32 v45, v224, v48, 1                               // 000000007E2C: D1FF002D 020661E0
	v_cndmask_b32_e64 v52, v45, v47, s[48:49]                  // 000000007E34: D1000034 00C25F2D
	v_cmp_u_f32_e64 s[48:49], v225, v225                       // 000000007E3C: D0480030 0003C3E1
	v_add3_u32 v45, v225, v48, 1                               // 000000007E44: D1FF002D 020661E1
	v_cndmask_b32_e64 v53, v45, v47, s[48:49]                  // 000000007E4C: D1000035 00C25F2D
	v_perm_b32 v220, v53, v52, s52                             // 000000007E54: D1ED00DC 00D26935
	v_cmp_u_f32_e64 s[48:49], v226, v226                       // 000000007E5C: D0480030 0003C5E2
	v_add3_u32 v45, v226, v48, 1                               // 000000007E64: D1FF002D 020661E2
	v_cndmask_b32_e64 v52, v45, v47, s[48:49]                  // 000000007E6C: D1000034 00C25F2D
	v_cmp_u_f32_e64 s[48:49], v227, v227                       // 000000007E74: D0480030 0003C7E3
	v_add3_u32 v45, v227, v48, 1                               // 000000007E7C: D1FF002D 020661E3
	v_cndmask_b32_e64 v53, v45, v47, s[48:49]                  // 000000007E84: D1000035 00C25F2D
	v_perm_b32 v221, v53, v52, s52                             // 000000007E8C: D1ED00DD 00D26935
	v_cmp_u_f32_e64 s[48:49], v228, v228                       // 000000007E94: D0480030 0003C9E4
	v_add3_u32 v45, v228, v48, 1                               // 000000007E9C: D1FF002D 020661E4
	v_cndmask_b32_e64 v52, v45, v47, s[48:49]                  // 000000007EA4: D1000034 00C25F2D
	v_cmp_u_f32_e64 s[48:49], v229, v229                       // 000000007EAC: D0480030 0003CBE5
	v_add3_u32 v45, v229, v48, 1                               // 000000007EB4: D1FF002D 020661E5
	v_cndmask_b32_e64 v53, v45, v47, s[48:49]                  // 000000007EBC: D1000035 00C25F2D
	v_perm_b32 v222, v53, v52, s52                             // 000000007EC4: D1ED00DE 00D26935
	v_cmp_u_f32_e64 s[48:49], v230, v230                       // 000000007ECC: D0480030 0003CDE6
	v_add3_u32 v45, v230, v48, 1                               // 000000007ED4: D1FF002D 020661E6
	v_cndmask_b32_e64 v52, v45, v47, s[48:49]                  // 000000007EDC: D1000034 00C25F2D
	v_cmp_u_f32_e64 s[48:49], v231, v231                       // 000000007EE4: D0480030 0003CFE7
	v_add3_u32 v45, v231, v48, 1                               // 000000007EEC: D1FF002D 020661E7
	v_cndmask_b32_e64 v53, v45, v47, s[48:49]                  // 000000007EF4: D1000035 00C25F2D
	v_perm_b32 v223, v53, v52, s52                             // 000000007EFC: D1ED00DF 00D26935
	v_cmp_u_f32_e64 s[48:49], v232, v232                       // 000000007F04: D0480030 0003D1E8
	v_add3_u32 v45, v232, v48, 1                               // 000000007F0C: D1FF002D 020661E8
	v_cndmask_b32_e64 v52, v45, v47, s[48:49]                  // 000000007F14: D1000034 00C25F2D
	v_cmp_u_f32_e64 s[48:49], v233, v233                       // 000000007F1C: D0480030 0003D3E9
	v_add3_u32 v45, v233, v48, 1                               // 000000007F24: D1FF002D 020661E9
	v_cndmask_b32_e64 v53, v45, v47, s[48:49]                  // 000000007F2C: D1000035 00C25F2D
	v_perm_b32 v224, v53, v52, s52                             // 000000007F34: D1ED00E0 00D26935
	v_cmp_u_f32_e64 s[48:49], v234, v234                       // 000000007F3C: D0480030 0003D5EA
	v_add3_u32 v45, v234, v48, 1                               // 000000007F44: D1FF002D 020661EA
	v_cndmask_b32_e64 v52, v45, v47, s[48:49]                  // 000000007F4C: D1000034 00C25F2D
	v_cmp_u_f32_e64 s[48:49], v235, v235                       // 000000007F54: D0480030 0003D7EB
	v_add3_u32 v45, v235, v48, 1                               // 000000007F5C: D1FF002D 020661EB
	v_cndmask_b32_e64 v53, v45, v47, s[48:49]                  // 000000007F64: D1000035 00C25F2D
	v_perm_b32 v225, v53, v52, s52                             // 000000007F6C: D1ED00E1 00D26935
	v_cmp_u_f32_e64 s[48:49], v236, v236                       // 000000007F74: D0480030 0003D9EC
	v_add3_u32 v45, v236, v48, 1                               // 000000007F7C: D1FF002D 020661EC
	v_cndmask_b32_e64 v52, v45, v47, s[48:49]                  // 000000007F84: D1000034 00C25F2D
	v_cmp_u_f32_e64 s[48:49], v237, v237                       // 000000007F8C: D0480030 0003DBED
	v_add3_u32 v45, v237, v48, 1                               // 000000007F94: D1FF002D 020661ED
	v_cndmask_b32_e64 v53, v45, v47, s[48:49]                  // 000000007F9C: D1000035 00C25F2D
	v_perm_b32 v226, v53, v52, s52                             // 000000007FA4: D1ED00E2 00D26935
	v_cmp_u_f32_e64 s[48:49], v238, v238                       // 000000007FAC: D0480030 0003DDEE
	v_add3_u32 v45, v238, v48, 1                               // 000000007FB4: D1FF002D 020661EE
	v_cndmask_b32_e64 v52, v45, v47, s[48:49]                  // 000000007FBC: D1000034 00C25F2D
	v_cmp_u_f32_e64 s[48:49], v239, v239                       // 000000007FC4: D0480030 0003DFEF
	v_add3_u32 v45, v239, v48, 1                               // 000000007FCC: D1FF002D 020661EF
	v_cndmask_b32_e64 v53, v45, v47, s[48:49]                  // 000000007FD4: D1000035 00C25F2D
	v_perm_b32 v227, v53, v52, s52                             // 000000007FDC: D1ED00E3 00D26935
	v_cmp_u_f32_e64 s[48:49], v240, v240                       // 000000007FE4: D0480030 0003E1F0
	v_add3_u32 v45, v240, v48, 1                               // 000000007FEC: D1FF002D 020661F0
	v_cndmask_b32_e64 v52, v45, v47, s[48:49]                  // 000000007FF4: D1000034 00C25F2D
	v_cmp_u_f32_e64 s[48:49], v241, v241                       // 000000007FFC: D0480030 0003E3F1
	v_add3_u32 v45, v241, v48, 1                               // 000000008004: D1FF002D 020661F1
	v_cndmask_b32_e64 v53, v45, v47, s[48:49]                  // 00000000800C: D1000035 00C25F2D
	v_perm_b32 v228, v53, v52, s52                             // 000000008014: D1ED00E4 00D26935
	v_cmp_u_f32_e64 s[48:49], v242, v242                       // 00000000801C: D0480030 0003E5F2
	v_add3_u32 v45, v242, v48, 1                               // 000000008024: D1FF002D 020661F2
	v_cndmask_b32_e64 v52, v45, v47, s[48:49]                  // 00000000802C: D1000034 00C25F2D
	v_cmp_u_f32_e64 s[48:49], v243, v243                       // 000000008034: D0480030 0003E7F3
	v_add3_u32 v45, v243, v48, 1                               // 00000000803C: D1FF002D 020661F3
	v_cndmask_b32_e64 v53, v45, v47, s[48:49]                  // 000000008044: D1000035 00C25F2D
	v_perm_b32 v229, v53, v52, s52                             // 00000000804C: D1ED00E5 00D26935
	v_cmp_u_f32_e64 s[48:49], v244, v244                       // 000000008054: D0480030 0003E9F4
	v_add3_u32 v45, v244, v48, 1                               // 00000000805C: D1FF002D 020661F4
	v_cndmask_b32_e64 v52, v45, v47, s[48:49]                  // 000000008064: D1000034 00C25F2D
	v_cmp_u_f32_e64 s[48:49], v245, v245                       // 00000000806C: D0480030 0003EBF5
	v_add3_u32 v45, v245, v48, 1                               // 000000008074: D1FF002D 020661F5
	v_cndmask_b32_e64 v53, v45, v47, s[48:49]                  // 00000000807C: D1000035 00C25F2D
	v_perm_b32 v230, v53, v52, s52                             // 000000008084: D1ED00E6 00D26935
	v_cmp_u_f32_e64 s[48:49], v246, v246                       // 00000000808C: D0480030 0003EDF6
	v_add3_u32 v45, v246, v48, 1                               // 000000008094: D1FF002D 020661F6
	v_cndmask_b32_e64 v52, v45, v47, s[48:49]                  // 00000000809C: D1000034 00C25F2D
	v_cmp_u_f32_e64 s[48:49], v247, v247                       // 0000000080A4: D0480030 0003EFF7
	v_add3_u32 v45, v247, v48, 1                               // 0000000080AC: D1FF002D 020661F7
	v_cndmask_b32_e64 v53, v45, v47, s[48:49]                  // 0000000080B4: D1000035 00C25F2D
	v_perm_b32 v231, v53, v52, s52                             // 0000000080BC: D1ED00E7 00D26935
	ds_write_b64 v3, v[216:217] offset:33024                   // 0000000080C4: D89A8100 0000D803
	ds_write_b64 v3, v[218:219] offset:41728                   // 0000000080CC: D89AA300 0000DA03
	ds_write_b64 v3, v[220:221] offset:35200                   // 0000000080D4: D89A8980 0000DC03
	ds_write_b64 v3, v[222:223] offset:43904                   // 0000000080DC: D89AAB80 0000DE03
	ds_write_b64 v3, v[224:225] offset:37376                   // 0000000080E4: D89A9200 0000E003
	ds_write_b64 v3, v[226:227] offset:46080                   // 0000000080EC: D89AB400 0000E203
	ds_write_b64 v3, v[228:229] offset:39552                   // 0000000080F4: D89A9A80 0000E403
	ds_write_b64 v3, v[230:231] offset:48256                   // 0000000080FC: D89ABC80 0000E603
	s_waitcnt lgkmcnt(0)                                       // 000000008104: BF8CC07F
	s_barrier                                                  // 000000008108: BF8A0000
	ds_read_b32 v64, v4 offset:33024                           // 00000000810C: D86C8100 40000004
	ds_read_b32 v65, v4 offset:37376                           // 000000008114: D86C9200 41000004
	ds_read_b32 v66, v4 offset:33056                           // 00000000811C: D86C8120 42000004
	ds_read_b32 v67, v4 offset:37408                           // 000000008124: D86C9220 43000004
	ds_read_b32 v68, v4 offset:33088                           // 00000000812C: D86C8140 44000004
	ds_read_b32 v69, v4 offset:37440                           // 000000008134: D86C9240 45000004
	ds_read_b32 v70, v4 offset:33120                           // 00000000813C: D86C8160 46000004
	ds_read_b32 v71, v4 offset:37472                           // 000000008144: D86C9260 47000004
	ds_read_b32 v72, v4 offset:41728                           // 00000000814C: D86CA300 48000004
	ds_read_b32 v73, v4 offset:46080                           // 000000008154: D86CB400 49000004
	ds_read_b32 v74, v4 offset:41760                           // 00000000815C: D86CA320 4A000004
	ds_read_b32 v75, v4 offset:46112                           // 000000008164: D86CB420 4B000004
	ds_read_b32 v76, v4 offset:41792                           // 00000000816C: D86CA340 4C000004
	ds_read_b32 v77, v4 offset:46144                           // 000000008174: D86CB440 4D000004
	ds_read_b32 v78, v4 offset:41824                           // 00000000817C: D86CA360 4E000004
	ds_read_b32 v79, v4 offset:46176                           // 000000008184: D86CB460 4F000004
	s_waitcnt lgkmcnt(0)                                       // 00000000818C: BF8CC07F
	s_mov_b64 exec, s[20:21]                                   // 000000008190: BEFE0114
	global_atomic_pk_add_bf16 v80, v64, s[8:9]                 // 000000008194: DD488000 00084050
	s_mov_b64 exec, s[36:37]                                   // 00000000819C: BEFE0124
	s_mov_b64 exec, s[20:21]                                   // 0000000081A0: BEFE0114
	global_atomic_pk_add_bf16 v80, v65, s[8:9] offset:256      // 0000000081A4: DD488100 00084150
	s_mov_b64 exec, s[36:37]                                   // 0000000081AC: BEFE0124
	s_mov_b64 exec, s[22:23]                                   // 0000000081B0: BEFE0116
	global_atomic_pk_add_bf16 v82, v66, s[8:9]                 // 0000000081B4: DD488000 00084252
	s_mov_b64 exec, s[36:37]                                   // 0000000081BC: BEFE0124
	s_mov_b64 exec, s[22:23]                                   // 0000000081C0: BEFE0116
	global_atomic_pk_add_bf16 v82, v67, s[8:9] offset:256      // 0000000081C4: DD488100 00084352
	s_mov_b64 exec, s[36:37]                                   // 0000000081CC: BEFE0124
	s_mov_b64 exec, s[24:25]                                   // 0000000081D0: BEFE0118
	global_atomic_pk_add_bf16 v84, v68, s[8:9]                 // 0000000081D4: DD488000 00084454
	s_mov_b64 exec, s[36:37]                                   // 0000000081DC: BEFE0124
	s_mov_b64 exec, s[24:25]                                   // 0000000081E0: BEFE0118
	global_atomic_pk_add_bf16 v84, v69, s[8:9] offset:256      // 0000000081E4: DD488100 00084554
	s_mov_b64 exec, s[36:37]                                   // 0000000081EC: BEFE0124
	s_mov_b64 exec, s[26:27]                                   // 0000000081F0: BEFE011A
	global_atomic_pk_add_bf16 v86, v70, s[8:9]                 // 0000000081F4: DD488000 00084656
	s_mov_b64 exec, s[36:37]                                   // 0000000081FC: BEFE0124
	s_mov_b64 exec, s[26:27]                                   // 000000008200: BEFE011A
	global_atomic_pk_add_bf16 v86, v71, s[8:9] offset:256      // 000000008204: DD488100 00084756
	s_mov_b64 exec, s[36:37]                                   // 00000000820C: BEFE0124
	s_mov_b64 exec, s[28:29]                                   // 000000008210: BEFE011C
	global_atomic_pk_add_bf16 v88, v72, s[8:9]                 // 000000008214: DD488000 00084858
	s_mov_b64 exec, s[36:37]                                   // 00000000821C: BEFE0124
	s_mov_b64 exec, s[28:29]                                   // 000000008220: BEFE011C
	global_atomic_pk_add_bf16 v88, v73, s[8:9] offset:256      // 000000008224: DD488100 00084958
	s_mov_b64 exec, s[36:37]                                   // 00000000822C: BEFE0124
	s_mov_b64 exec, s[30:31]                                   // 000000008230: BEFE011E
	global_atomic_pk_add_bf16 v90, v74, s[8:9]                 // 000000008234: DD488000 00084A5A
	s_mov_b64 exec, s[36:37]                                   // 00000000823C: BEFE0124
	s_mov_b64 exec, s[30:31]                                   // 000000008240: BEFE011E
	global_atomic_pk_add_bf16 v90, v75, s[8:9] offset:256      // 000000008244: DD488100 00084B5A
	s_mov_b64 exec, s[36:37]                                   // 00000000824C: BEFE0124
	s_mov_b64 exec, s[32:33]                                   // 000000008250: BEFE0120
	global_atomic_pk_add_bf16 v92, v76, s[8:9]                 // 000000008254: DD488000 00084C5C
	s_mov_b64 exec, s[36:37]                                   // 00000000825C: BEFE0124
	s_mov_b64 exec, s[32:33]                                   // 000000008260: BEFE0120
	global_atomic_pk_add_bf16 v92, v77, s[8:9] offset:256      // 000000008264: DD488100 00084D5C
	s_mov_b64 exec, s[36:37]                                   // 00000000826C: BEFE0124
	s_mov_b64 exec, s[34:35]                                   // 000000008270: BEFE0122
	global_atomic_pk_add_bf16 v94, v78, s[8:9]                 // 000000008274: DD488000 00084E5E
	s_mov_b64 exec, s[36:37]                                   // 00000000827C: BEFE0124
	s_mov_b64 exec, s[34:35]                                   // 000000008280: BEFE0122
	global_atomic_pk_add_bf16 v94, v79, s[8:9] offset:256      // 000000008284: DD488100 00084F5E
	s_mov_b64 exec, s[36:37]                                   // 00000000828C: BEFE0124
	s_add_u32 s8, s59, s8                                      // 000000008290: 8008083B
	s_addc_u32 s9, 0, s9                                       // 000000008294: 82090980
	s_addk_i32 s80, 0x100                                      // 000000008298: B7500100
	s_cmp_lt_i32 s80, s81                                      // 00000000829C: BF045150
	s_cbranch_scc0 label_152A                                  // 0000000082A0: BF840001
	s_branch label_0EC9                                        // 0000000082A4: BF82F99F

00000000000082a8 <label_152A>:
	s_nop 0                                                    // 0000000082A8: BF800000
	s_nop 0                                                    // 0000000082AC: BF800000
	s_branch label_279E                                        // 0000000082B0: BF821271

00000000000082b4 <label_152D>:
	s_waitcnt vmcnt(20) lgkmcnt(0)                             // 0000000082B4: BF8C4074
	s_barrier                                                  // 0000000082B8: BF8A0000
	v_mfma_i32_16x16x32_i8 v[128:131], a[0:1], v[184:185], v[128:131]// 0000000082BC: D3D70080 0E037100
	buffer_load_dwordx4 a[112:115], v34, s[92:95], 0 offen     // 0000000082C4: E05C1000 80977022
	v_mfma_i32_16x16x32_i8 v[128:131], a[2:3], v[186:187], v[128:131]// 0000000082CC: D3D70080 0E037502
	v_mfma_i32_16x16x32_i8 v[128:131], a[4:5], v[188:189], v[128:131]// 0000000082D4: D3D70080 0E037904
	buffer_load_dword v26, s[20:23], 0 offen lds               // 0000000082DC: E0511000 8005001A
	s_add_u32 m0, 0x100, s51                                   // 0000000082E4: 807C33FF 00000100
	v_mfma_i32_16x16x32_i8 v[128:131], a[6:7], v[190:191], v[128:131]// 0000000082EC: D3D70080 0E037D06
	v_mfma_i32_16x16x32_i8 v[128:131], a[8:9], v[192:193], v[128:131]// 0000000082F4: D3D70080 0E038108
	buffer_load_dwordx4 a[116:119], v34, s[92:95], 0 offen offset:1024// 0000000082FC: E05C1400 80977422
	v_mfma_i32_16x16x32_i8 v[128:131], a[10:11], v[194:195], v[128:131]// 000000008304: D3D70080 0E03850A
	v_mfma_i32_16x16x32_i8 v[128:131], a[12:13], v[196:197], v[128:131]// 00000000830C: D3D70080 0E03890C
	buffer_load_dword v27, s[20:23], 0 offen lds               // 000000008314: E0511000 8005001B
	s_add_u32 m0, 0x200, s51                                   // 00000000831C: 807C33FF 00000200
	v_mfma_i32_16x16x32_i8 v[128:131], a[14:15], v[198:199], v[128:131]// 000000008324: D3D70080 0E038D0E
	v_mfma_i32_16x16x32_i8 v[132:135], a[0:1], v[200:201], v[132:135]// 00000000832C: D3D70084 0E139100
	buffer_load_dwordx4 a[120:123], v34, s[92:95], 0 offen offset:2048// 000000008334: E05C1800 80977822
	v_mfma_i32_16x16x32_i8 v[132:135], a[2:3], v[202:203], v[132:135]// 00000000833C: D3D70084 0E139502
	v_mfma_i32_16x16x32_i8 v[132:135], a[4:5], v[204:205], v[132:135]// 000000008344: D3D70084 0E139904
	buffer_load_dword v28, s[20:23], 0 offen lds               // 00000000834C: E0511000 8005001C
	s_add_u32 m0, 0x300, s51                                   // 000000008354: 807C33FF 00000300
	v_mfma_i32_16x16x32_i8 v[132:135], a[6:7], v[206:207], v[132:135]// 00000000835C: D3D70084 0E139D06
	v_mfma_i32_16x16x32_i8 v[132:135], a[8:9], v[208:209], v[132:135]// 000000008364: D3D70084 0E13A108
	buffer_load_dwordx4 a[124:127], v34, s[92:95], 0 offen offset:3072// 00000000836C: E05C1C00 80977C22
	v_mfma_i32_16x16x32_i8 v[132:135], a[10:11], v[210:211], v[132:135]// 000000008374: D3D70084 0E13A50A
	v_mfma_i32_16x16x32_i8 v[132:135], a[12:13], v[212:213], v[132:135]// 00000000837C: D3D70084 0E13A90C
	buffer_load_dword v29, s[20:23], 0 offen lds               // 000000008384: E0511000 8005001D
	s_add_u32 m0, 0x400, s51                                   // 00000000838C: 807C33FF 00000400
	v_mfma_i32_16x16x32_i8 v[132:135], a[14:15], v[214:215], v[132:135]// 000000008394: D3D70084 0E13AD0E
	v_mfma_i32_16x16x32_i8 v[136:139], a[16:17], v[184:185], v[136:139]// 00000000839C: D3D70088 0E237110
	buffer_load_dwordx4 a[128:131], v35, s[92:95], 0 offen     // 0000000083A4: E05C1000 80978023
	v_mfma_i32_16x16x32_i8 v[136:139], a[18:19], v[186:187], v[136:139]// 0000000083AC: D3D70088 0E237512
	v_mfma_i32_16x16x32_i8 v[136:139], a[20:21], v[188:189], v[136:139]// 0000000083B4: D3D70088 0E237914
	buffer_load_dword v30, s[20:23], 0 offen lds               // 0000000083BC: E0511000 8005001E
	s_add_u32 m0, 0x500, s51                                   // 0000000083C4: 807C33FF 00000500
	v_mfma_i32_16x16x32_i8 v[136:139], a[22:23], v[190:191], v[136:139]// 0000000083CC: D3D70088 0E237D16
	v_mfma_i32_16x16x32_i8 v[136:139], a[24:25], v[192:193], v[136:139]// 0000000083D4: D3D70088 0E238118
	buffer_load_dwordx4 a[132:135], v35, s[92:95], 0 offen offset:1024// 0000000083DC: E05C1400 80978423
	v_mfma_i32_16x16x32_i8 v[136:139], a[26:27], v[194:195], v[136:139]// 0000000083E4: D3D70088 0E23851A
	v_mfma_i32_16x16x32_i8 v[136:139], a[28:29], v[196:197], v[136:139]// 0000000083EC: D3D70088 0E23891C
	buffer_load_dword v31, s[20:23], 0 offen lds               // 0000000083F4: E0511000 8005001F
	s_add_u32 m0, 0x600, s51                                   // 0000000083FC: 807C33FF 00000600
	v_mfma_i32_16x16x32_i8 v[136:139], a[30:31], v[198:199], v[136:139]// 000000008404: D3D70088 0E238D1E
	v_mfma_i32_16x16x32_i8 v[140:143], a[16:17], v[200:201], v[140:143]// 00000000840C: D3D7008C 0E339110
	buffer_load_dwordx4 a[136:139], v35, s[92:95], 0 offen offset:2048// 000000008414: E05C1800 80978823
	v_mfma_i32_16x16x32_i8 v[140:143], a[18:19], v[202:203], v[140:143]// 00000000841C: D3D7008C 0E339512
	v_mfma_i32_16x16x32_i8 v[140:143], a[20:21], v[204:205], v[140:143]// 000000008424: D3D7008C 0E339914
	buffer_load_dword v32, s[20:23], 0 offen lds               // 00000000842C: E0511000 80050020
	s_add_u32 m0, 0x700, s51                                   // 000000008434: 807C33FF 00000700
	v_mfma_i32_16x16x32_i8 v[140:143], a[22:23], v[206:207], v[140:143]// 00000000843C: D3D7008C 0E339D16
	v_mfma_i32_16x16x32_i8 v[140:143], a[24:25], v[208:209], v[140:143]// 000000008444: D3D7008C 0E33A118
	buffer_load_dwordx4 a[140:143], v35, s[92:95], 0 offen offset:3072// 00000000844C: E05C1C00 80978C23
	v_mfma_i32_16x16x32_i8 v[140:143], a[26:27], v[210:211], v[140:143]// 000000008454: D3D7008C 0E33A51A
	v_mfma_i32_16x16x32_i8 v[140:143], a[28:29], v[212:213], v[140:143]// 00000000845C: D3D7008C 0E33A91C
	buffer_load_dword v33, s[20:23], 0 offen lds               // 000000008464: E0511000 80050021
	s_add_u32 m0, 0, s50                                       // 00000000846C: 807C3280
	v_mfma_i32_16x16x32_i8 v[140:143], a[30:31], v[214:215], v[140:143]// 000000008470: D3D7008C 0E33AD1E
	s_waitcnt vmcnt(32)                                        // 000000008478: BF8C8F70
	v_mfma_i32_16x16x32_i8 v[144:147], a[32:33], v[184:185], v[144:147]// 00000000847C: D3D70090 0E437120
	buffer_load_dwordx4 a[144:147], v36, s[92:95], 0 offen     // 000000008484: E05C1000 80979024
	v_mfma_i32_16x16x32_i8 v[144:147], a[34:35], v[186:187], v[144:147]// 00000000848C: D3D70090 0E437522
	v_mfma_i32_16x16x32_i8 v[144:147], a[36:37], v[188:189], v[144:147]// 000000008494: D3D70090 0E437924
	v_mfma_i32_16x16x32_i8 v[144:147], a[38:39], v[190:191], v[144:147]// 00000000849C: D3D70090 0E437D26
	v_mfma_i32_16x16x32_i8 v[144:147], a[40:41], v[192:193], v[144:147]// 0000000084A4: D3D70090 0E438128
	buffer_load_dwordx4 a[148:151], v36, s[92:95], 0 offen offset:1024// 0000000084AC: E05C1400 80979424
	v_mfma_i32_16x16x32_i8 v[144:147], a[42:43], v[194:195], v[144:147]// 0000000084B4: D3D70090 0E43852A
	v_mfma_i32_16x16x32_i8 v[144:147], a[44:45], v[196:197], v[144:147]// 0000000084BC: D3D70090 0E43892C
	v_mfma_i32_16x16x32_i8 v[144:147], a[46:47], v[198:199], v[144:147]// 0000000084C4: D3D70090 0E438D2E
	v_mfma_i32_16x16x32_i8 v[148:151], a[32:33], v[200:201], v[148:151]// 0000000084CC: D3D70094 0E539120
	buffer_load_dwordx4 a[152:155], v36, s[92:95], 0 offen offset:2048// 0000000084D4: E05C1800 80979824
	v_mfma_i32_16x16x32_i8 v[148:151], a[34:35], v[202:203], v[148:151]// 0000000084DC: D3D70094 0E539522
	v_mfma_i32_16x16x32_i8 v[148:151], a[36:37], v[204:205], v[148:151]// 0000000084E4: D3D70094 0E539924
	v_mfma_i32_16x16x32_i8 v[148:151], a[38:39], v[206:207], v[148:151]// 0000000084EC: D3D70094 0E539D26
	v_mfma_i32_16x16x32_i8 v[148:151], a[40:41], v[208:209], v[148:151]// 0000000084F4: D3D70094 0E53A128
	buffer_load_dwordx4 a[156:159], v36, s[92:95], 0 offen offset:3072// 0000000084FC: E05C1C00 80979C24
	v_mfma_i32_16x16x32_i8 v[148:151], a[42:43], v[210:211], v[148:151]// 000000008504: D3D70094 0E53A52A
	v_mfma_i32_16x16x32_i8 v[148:151], a[44:45], v[212:213], v[148:151]// 00000000850C: D3D70094 0E53A92C
	v_mfma_i32_16x16x32_i8 v[148:151], a[46:47], v[214:215], v[148:151]// 000000008514: D3D70094 0E53AD2E
	s_waitcnt vmcnt(32)                                        // 00000000851C: BF8C8F70
	v_mfma_i32_16x16x32_i8 v[152:155], a[48:49], v[184:185], v[152:155]// 000000008520: D3D70098 0E637130
	buffer_load_dwordx4 a[160:163], v37, s[92:95], 0 offen     // 000000008528: E05C1000 8097A025
	v_mfma_i32_16x16x32_i8 v[152:155], a[50:51], v[186:187], v[152:155]// 000000008530: D3D70098 0E637532
	v_mfma_i32_16x16x32_i8 v[152:155], a[52:53], v[188:189], v[152:155]// 000000008538: D3D70098 0E637934
	v_mfma_i32_16x16x32_i8 v[152:155], a[54:55], v[190:191], v[152:155]// 000000008540: D3D70098 0E637D36
	v_mfma_i32_16x16x32_i8 v[152:155], a[56:57], v[192:193], v[152:155]// 000000008548: D3D70098 0E638138
	buffer_load_dwordx4 a[164:167], v37, s[92:95], 0 offen offset:1024// 000000008550: E05C1400 8097A425
	v_mfma_i32_16x16x32_i8 v[152:155], a[58:59], v[194:195], v[152:155]// 000000008558: D3D70098 0E63853A
	v_mfma_i32_16x16x32_i8 v[152:155], a[60:61], v[196:197], v[152:155]// 000000008560: D3D70098 0E63893C
	v_mfma_i32_16x16x32_i8 v[152:155], a[62:63], v[198:199], v[152:155]// 000000008568: D3D70098 0E638D3E
	v_mfma_i32_16x16x32_i8 v[156:159], a[48:49], v[200:201], v[156:159]// 000000008570: D3D7009C 0E739130
	buffer_load_dwordx4 a[168:171], v37, s[92:95], 0 offen offset:2048// 000000008578: E05C1800 8097A825
	v_mfma_i32_16x16x32_i8 v[156:159], a[50:51], v[202:203], v[156:159]// 000000008580: D3D7009C 0E739532
	v_mfma_i32_16x16x32_i8 v[156:159], a[52:53], v[204:205], v[156:159]// 000000008588: D3D7009C 0E739934
	v_mfma_i32_16x16x32_i8 v[156:159], a[54:55], v[206:207], v[156:159]// 000000008590: D3D7009C 0E739D36
	v_mfma_i32_16x16x32_i8 v[156:159], a[56:57], v[208:209], v[156:159]// 000000008598: D3D7009C 0E73A138
	buffer_load_dwordx4 a[172:175], v37, s[92:95], 0 offen offset:3072// 0000000085A0: E05C1C00 8097AC25
	v_mfma_i32_16x16x32_i8 v[156:159], a[58:59], v[210:211], v[156:159]// 0000000085A8: D3D7009C 0E73A53A
	v_mfma_i32_16x16x32_i8 v[156:159], a[60:61], v[212:213], v[156:159]// 0000000085B0: D3D7009C 0E73A93C
	v_mfma_i32_16x16x32_i8 v[156:159], a[62:63], v[214:215], v[156:159]// 0000000085B8: D3D7009C 0E73AD3E
	s_waitcnt vmcnt(32)                                        // 0000000085C0: BF8C8F70
	v_mfma_i32_16x16x32_i8 v[160:163], a[64:65], v[184:185], v[160:163]// 0000000085C4: D3D700A0 0E837140
	buffer_load_dwordx4 a[176:179], v38, s[92:95], 0 offen     // 0000000085CC: E05C1000 8097B026
	v_mfma_i32_16x16x32_i8 v[160:163], a[66:67], v[186:187], v[160:163]// 0000000085D4: D3D700A0 0E837542
	v_mfma_i32_16x16x32_i8 v[160:163], a[68:69], v[188:189], v[160:163]// 0000000085DC: D3D700A0 0E837944
	v_mfma_i32_16x16x32_i8 v[160:163], a[70:71], v[190:191], v[160:163]// 0000000085E4: D3D700A0 0E837D46
	v_mfma_i32_16x16x32_i8 v[160:163], a[72:73], v[192:193], v[160:163]// 0000000085EC: D3D700A0 0E838148
	buffer_load_dwordx4 a[180:183], v38, s[92:95], 0 offen offset:1024// 0000000085F4: E05C1400 8097B426
	v_mfma_i32_16x16x32_i8 v[160:163], a[74:75], v[194:195], v[160:163]// 0000000085FC: D3D700A0 0E83854A
	v_mfma_i32_16x16x32_i8 v[160:163], a[76:77], v[196:197], v[160:163]// 000000008604: D3D700A0 0E83894C
	v_mfma_i32_16x16x32_i8 v[160:163], a[78:79], v[198:199], v[160:163]// 00000000860C: D3D700A0 0E838D4E
	v_mfma_i32_16x16x32_i8 v[164:167], a[64:65], v[200:201], v[164:167]// 000000008614: D3D700A4 0E939140
	buffer_load_dwordx4 a[184:187], v38, s[92:95], 0 offen offset:2048// 00000000861C: E05C1800 8097B826
	v_mfma_i32_16x16x32_i8 v[164:167], a[66:67], v[202:203], v[164:167]// 000000008624: D3D700A4 0E939542
	v_mfma_i32_16x16x32_i8 v[164:167], a[68:69], v[204:205], v[164:167]// 00000000862C: D3D700A4 0E939944
	v_mfma_i32_16x16x32_i8 v[164:167], a[70:71], v[206:207], v[164:167]// 000000008634: D3D700A4 0E939D46
	v_mfma_i32_16x16x32_i8 v[164:167], a[72:73], v[208:209], v[164:167]// 00000000863C: D3D700A4 0E93A148
	buffer_load_dwordx4 a[188:191], v38, s[92:95], 0 offen offset:3072// 000000008644: E05C1C00 8097BC26
	v_mfma_i32_16x16x32_i8 v[164:167], a[74:75], v[210:211], v[164:167]// 00000000864C: D3D700A4 0E93A54A
	v_mfma_i32_16x16x32_i8 v[164:167], a[76:77], v[212:213], v[164:167]// 000000008654: D3D700A4 0E93A94C
	v_mfma_i32_16x16x32_i8 v[164:167], a[78:79], v[214:215], v[164:167]// 00000000865C: D3D700A4 0E93AD4E
	s_waitcnt vmcnt(32)                                        // 000000008664: BF8C8F70
	v_mfma_i32_16x16x32_i8 v[168:171], a[80:81], v[184:185], v[168:171]// 000000008668: D3D700A8 0EA37150
	buffer_load_dwordx4 a[192:195], v39, s[92:95], 0 offen     // 000000008670: E05C1000 8097C027
	v_mfma_i32_16x16x32_i8 v[168:171], a[82:83], v[186:187], v[168:171]// 000000008678: D3D700A8 0EA37552
	v_mfma_i32_16x16x32_i8 v[168:171], a[84:85], v[188:189], v[168:171]// 000000008680: D3D700A8 0EA37954
	v_mfma_i32_16x16x32_i8 v[168:171], a[86:87], v[190:191], v[168:171]// 000000008688: D3D700A8 0EA37D56
	v_mfma_i32_16x16x32_i8 v[168:171], a[88:89], v[192:193], v[168:171]// 000000008690: D3D700A8 0EA38158
	buffer_load_dwordx4 a[196:199], v39, s[92:95], 0 offen offset:1024// 000000008698: E05C1400 8097C427
	v_mfma_i32_16x16x32_i8 v[168:171], a[90:91], v[194:195], v[168:171]// 0000000086A0: D3D700A8 0EA3855A
	v_mfma_i32_16x16x32_i8 v[168:171], a[92:93], v[196:197], v[168:171]// 0000000086A8: D3D700A8 0EA3895C
	v_mfma_i32_16x16x32_i8 v[168:171], a[94:95], v[198:199], v[168:171]// 0000000086B0: D3D700A8 0EA38D5E
	v_mfma_i32_16x16x32_i8 v[172:175], a[80:81], v[200:201], v[172:175]// 0000000086B8: D3D700AC 0EB39150
	buffer_load_dwordx4 a[200:203], v39, s[92:95], 0 offen offset:2048// 0000000086C0: E05C1800 8097C827
	v_mfma_i32_16x16x32_i8 v[172:175], a[82:83], v[202:203], v[172:175]// 0000000086C8: D3D700AC 0EB39552
	v_mfma_i32_16x16x32_i8 v[172:175], a[84:85], v[204:205], v[172:175]// 0000000086D0: D3D700AC 0EB39954
	v_mfma_i32_16x16x32_i8 v[172:175], a[86:87], v[206:207], v[172:175]// 0000000086D8: D3D700AC 0EB39D56
	v_mfma_i32_16x16x32_i8 v[172:175], a[88:89], v[208:209], v[172:175]// 0000000086E0: D3D700AC 0EB3A158
	buffer_load_dwordx4 a[204:207], v39, s[92:95], 0 offen offset:3072// 0000000086E8: E05C1C00 8097CC27
	v_mfma_i32_16x16x32_i8 v[172:175], a[90:91], v[210:211], v[172:175]// 0000000086F0: D3D700AC 0EB3A55A
	v_mfma_i32_16x16x32_i8 v[172:175], a[92:93], v[212:213], v[172:175]// 0000000086F8: D3D700AC 0EB3A95C
	v_mfma_i32_16x16x32_i8 v[172:175], a[94:95], v[214:215], v[172:175]// 000000008700: D3D700AC 0EB3AD5E
	s_waitcnt vmcnt(32)                                        // 000000008708: BF8C8F70
	v_mfma_i32_16x16x32_i8 v[176:179], a[96:97], v[184:185], v[176:179]// 00000000870C: D3D700B0 0EC37160
	buffer_load_dwordx4 a[208:211], v40, s[92:95], 0 offen     // 000000008714: E05C1000 8097D028
	v_mfma_i32_16x16x32_i8 v[176:179], a[98:99], v[186:187], v[176:179]// 00000000871C: D3D700B0 0EC37562
	v_mfma_i32_16x16x32_i8 v[176:179], a[100:101], v[188:189], v[176:179]// 000000008724: D3D700B0 0EC37964
	v_mfma_i32_16x16x32_i8 v[176:179], a[102:103], v[190:191], v[176:179]// 00000000872C: D3D700B0 0EC37D66
	v_mfma_i32_16x16x32_i8 v[176:179], a[104:105], v[192:193], v[176:179]// 000000008734: D3D700B0 0EC38168
	buffer_load_dwordx4 a[212:215], v40, s[92:95], 0 offen offset:1024// 00000000873C: E05C1400 8097D428
	v_mfma_i32_16x16x32_i8 v[176:179], a[106:107], v[194:195], v[176:179]// 000000008744: D3D700B0 0EC3856A
	v_mfma_i32_16x16x32_i8 v[176:179], a[108:109], v[196:197], v[176:179]// 00000000874C: D3D700B0 0EC3896C
	v_mfma_i32_16x16x32_i8 v[176:179], a[110:111], v[198:199], v[176:179]// 000000008754: D3D700B0 0EC38D6E
	v_mfma_i32_16x16x32_i8 v[180:183], a[96:97], v[200:201], v[180:183]// 00000000875C: D3D700B4 0ED39160
	buffer_load_dwordx4 a[216:219], v40, s[92:95], 0 offen offset:2048// 000000008764: E05C1800 8097D828
	v_mfma_i32_16x16x32_i8 v[180:183], a[98:99], v[202:203], v[180:183]// 00000000876C: D3D700B4 0ED39562
	v_mfma_i32_16x16x32_i8 v[180:183], a[100:101], v[204:205], v[180:183]// 000000008774: D3D700B4 0ED39964
	v_mfma_i32_16x16x32_i8 v[180:183], a[102:103], v[206:207], v[180:183]// 00000000877C: D3D700B4 0ED39D66
	v_mfma_i32_16x16x32_i8 v[180:183], a[104:105], v[208:209], v[180:183]// 000000008784: D3D700B4 0ED3A168
	buffer_load_dwordx4 a[220:223], v40, s[92:95], 0 offen offset:3072// 00000000878C: E05C1C00 8097DC28
	v_mfma_i32_16x16x32_i8 v[180:183], a[106:107], v[210:211], v[180:183]// 000000008794: D3D700B4 0ED3A56A
	v_mfma_i32_16x16x32_i8 v[180:183], a[108:109], v[212:213], v[180:183]// 00000000879C: D3D700B4 0ED3A96C
	v_mfma_i32_16x16x32_i8 v[180:183], a[110:111], v[214:215], v[180:183]// 0000000087A4: D3D700B4 0ED3AD6E
	s_waitcnt vmcnt(20)                                        // 0000000087AC: BF8C4F74
	s_barrier                                                  // 0000000087B0: BF8A0000
	v_mfma_i32_16x16x32_i8 v[64:67], a[112:113], v[184:185], v[64:67]// 0000000087B4: D3D70040 0D037170
	buffer_load_dwordx4 a[0:3], v34, s[24:27], 0 offen         // 0000000087BC: E05C1000 80860022
	v_mfma_i32_16x16x32_i8 v[64:67], a[114:115], v[186:187], v[64:67]// 0000000087C4: D3D70040 0D037572
	v_mfma_i32_16x16x32_i8 v[64:67], a[116:117], v[188:189], v[64:67]// 0000000087CC: D3D70040 0D037974
	v_mfma_i32_16x16x32_i8 v[64:67], a[118:119], v[190:191], v[64:67]// 0000000087D4: D3D70040 0D037D76
	v_mfma_i32_16x16x32_i8 v[64:67], a[120:121], v[192:193], v[64:67]// 0000000087DC: D3D70040 0D038178
	buffer_load_dwordx4 a[4:7], v34, s[24:27], 0 offen offset:1024// 0000000087E4: E05C1400 80860422
	v_mfma_i32_16x16x32_i8 v[64:67], a[122:123], v[194:195], v[64:67]// 0000000087EC: D3D70040 0D03857A
	v_mfma_i32_16x16x32_i8 v[64:67], a[124:125], v[196:197], v[64:67]// 0000000087F4: D3D70040 0D03897C
	v_mfma_i32_16x16x32_i8 v[64:67], a[126:127], v[198:199], v[64:67]// 0000000087FC: D3D70040 0D038D7E
	v_mfma_i32_16x16x32_i8 v[68:71], a[112:113], v[200:201], v[68:71]// 000000008804: D3D70044 0D139170
	buffer_load_dwordx4 a[8:11], v34, s[24:27], 0 offen offset:2048// 00000000880C: E05C1800 80860822
	v_mfma_i32_16x16x32_i8 v[68:71], a[114:115], v[202:203], v[68:71]// 000000008814: D3D70044 0D139572
	v_mfma_i32_16x16x32_i8 v[68:71], a[116:117], v[204:205], v[68:71]// 00000000881C: D3D70044 0D139974
	v_mfma_i32_16x16x32_i8 v[68:71], a[118:119], v[206:207], v[68:71]// 000000008824: D3D70044 0D139D76
	v_mfma_i32_16x16x32_i8 v[68:71], a[120:121], v[208:209], v[68:71]// 00000000882C: D3D70044 0D13A178
	buffer_load_dwordx4 a[12:15], v34, s[24:27], 0 offen offset:3072// 000000008834: E05C1C00 80860C22
	v_mfma_i32_16x16x32_i8 v[68:71], a[122:123], v[210:211], v[68:71]// 00000000883C: D3D70044 0D13A57A
	v_mfma_i32_16x16x32_i8 v[68:71], a[124:125], v[212:213], v[68:71]// 000000008844: D3D70044 0D13A97C
	v_mfma_i32_16x16x32_i8 v[68:71], a[126:127], v[214:215], v[68:71]// 00000000884C: D3D70044 0D13AD7E
	v_mfma_i32_16x16x32_i8 v[72:75], a[128:129], v[184:185], v[72:75]// 000000008854: D3D70048 0D237180
	buffer_load_dwordx4 a[16:19], v35, s[24:27], 0 offen       // 00000000885C: E05C1000 80861023
	v_mfma_i32_16x16x32_i8 v[72:75], a[130:131], v[186:187], v[72:75]// 000000008864: D3D70048 0D237582
	v_mfma_i32_16x16x32_i8 v[72:75], a[132:133], v[188:189], v[72:75]// 00000000886C: D3D70048 0D237984
	v_mfma_i32_16x16x32_i8 v[72:75], a[134:135], v[190:191], v[72:75]// 000000008874: D3D70048 0D237D86
	v_mfma_i32_16x16x32_i8 v[72:75], a[136:137], v[192:193], v[72:75]// 00000000887C: D3D70048 0D238188
	buffer_load_dwordx4 a[20:23], v35, s[24:27], 0 offen offset:1024// 000000008884: E05C1400 80861423
	v_mfma_i32_16x16x32_i8 v[72:75], a[138:139], v[194:195], v[72:75]// 00000000888C: D3D70048 0D23858A
	v_mfma_i32_16x16x32_i8 v[72:75], a[140:141], v[196:197], v[72:75]// 000000008894: D3D70048 0D23898C
	v_mfma_i32_16x16x32_i8 v[72:75], a[142:143], v[198:199], v[72:75]// 00000000889C: D3D70048 0D238D8E
	v_mfma_i32_16x16x32_i8 v[76:79], a[128:129], v[200:201], v[76:79]// 0000000088A4: D3D7004C 0D339180
	buffer_load_dwordx4 a[24:27], v35, s[24:27], 0 offen offset:2048// 0000000088AC: E05C1800 80861823
	v_mfma_i32_16x16x32_i8 v[76:79], a[130:131], v[202:203], v[76:79]// 0000000088B4: D3D7004C 0D339582
	v_mfma_i32_16x16x32_i8 v[76:79], a[132:133], v[204:205], v[76:79]// 0000000088BC: D3D7004C 0D339984
	v_mfma_i32_16x16x32_i8 v[76:79], a[134:135], v[206:207], v[76:79]// 0000000088C4: D3D7004C 0D339D86
	v_mfma_i32_16x16x32_i8 v[76:79], a[136:137], v[208:209], v[76:79]// 0000000088CC: D3D7004C 0D33A188
	buffer_load_dwordx4 a[28:31], v35, s[24:27], 0 offen offset:3072// 0000000088D4: E05C1C00 80861C23
	v_mfma_i32_16x16x32_i8 v[76:79], a[138:139], v[210:211], v[76:79]// 0000000088DC: D3D7004C 0D33A58A
	v_mfma_i32_16x16x32_i8 v[76:79], a[140:141], v[212:213], v[76:79]// 0000000088E4: D3D7004C 0D33A98C
	v_mfma_i32_16x16x32_i8 v[76:79], a[142:143], v[214:215], v[76:79]// 0000000088EC: D3D7004C 0D33AD8E
	s_waitcnt vmcnt(24)                                        // 0000000088F4: BF8C4F78
	v_mfma_i32_16x16x32_i8 v[80:83], a[144:145], v[184:185], v[80:83]// 0000000088F8: D3D70050 0D437190
	buffer_load_dwordx4 a[32:35], v36, s[24:27], 0 offen       // 000000008900: E05C1000 80862024
	v_mfma_i32_16x16x32_i8 v[80:83], a[146:147], v[186:187], v[80:83]// 000000008908: D3D70050 0D437592
	v_mfma_i32_16x16x32_i8 v[80:83], a[148:149], v[188:189], v[80:83]// 000000008910: D3D70050 0D437994
	ds_read_b128 v[216:219], v2 offset:8320                    // 000000008918: D9FE2080 D8000002
	v_mfma_i32_16x16x32_i8 v[80:83], a[150:151], v[190:191], v[80:83]// 000000008920: D3D70050 0D437D96
	v_mfma_i32_16x16x32_i8 v[80:83], a[152:153], v[192:193], v[80:83]// 000000008928: D3D70050 0D438198
	buffer_load_dwordx4 a[36:39], v36, s[24:27], 0 offen offset:1024// 000000008930: E05C1400 80862424
	v_mfma_i32_16x16x32_i8 v[80:83], a[154:155], v[194:195], v[80:83]// 000000008938: D3D70050 0D43859A
	v_mfma_i32_16x16x32_i8 v[80:83], a[156:157], v[196:197], v[80:83]// 000000008940: D3D70050 0D43899C
	ds_read_b128 v[220:223], v2 offset:8384                    // 000000008948: D9FE20C0 DC000002
	v_mfma_i32_16x16x32_i8 v[80:83], a[158:159], v[198:199], v[80:83]// 000000008950: D3D70050 0D438D9E
	v_mfma_i32_16x16x32_i8 v[84:87], a[144:145], v[200:201], v[84:87]// 000000008958: D3D70054 0D539190
	buffer_load_dwordx4 a[40:43], v36, s[24:27], 0 offen offset:2048// 000000008960: E05C1800 80862824
	v_mfma_i32_16x16x32_i8 v[84:87], a[146:147], v[202:203], v[84:87]// 000000008968: D3D70054 0D539592
	v_mfma_i32_16x16x32_i8 v[84:87], a[148:149], v[204:205], v[84:87]// 000000008970: D3D70054 0D539994
	ds_read_b128 v[224:227], v2 offset:8448                    // 000000008978: D9FE2100 E0000002
	v_mfma_i32_16x16x32_i8 v[84:87], a[150:151], v[206:207], v[84:87]// 000000008980: D3D70054 0D539D96
	v_mfma_i32_16x16x32_i8 v[84:87], a[152:153], v[208:209], v[84:87]// 000000008988: D3D70054 0D53A198
	buffer_load_dwordx4 a[44:47], v36, s[24:27], 0 offen offset:3072// 000000008990: E05C1C00 80862C24
	v_mfma_i32_16x16x32_i8 v[84:87], a[154:155], v[210:211], v[84:87]// 000000008998: D3D70054 0D53A59A
	v_mfma_i32_16x16x32_i8 v[84:87], a[156:157], v[212:213], v[84:87]// 0000000089A0: D3D70054 0D53A99C
	ds_read_b128 v[228:231], v2 offset:8512                    // 0000000089A8: D9FE2140 E4000002
	v_mfma_i32_16x16x32_i8 v[84:87], a[158:159], v[214:215], v[84:87]// 0000000089B0: D3D70054 0D53AD9E
	s_waitcnt vmcnt(24)                                        // 0000000089B8: BF8C4F78
	v_mfma_i32_16x16x32_i8 v[88:91], a[160:161], v[184:185], v[88:91]// 0000000089BC: D3D70058 0D6371A0
	buffer_load_dwordx4 a[48:51], v37, s[24:27], 0 offen       // 0000000089C4: E05C1000 80863025
	v_mfma_i32_16x16x32_i8 v[88:91], a[162:163], v[186:187], v[88:91]// 0000000089CC: D3D70058 0D6375A2
	v_mfma_i32_16x16x32_i8 v[88:91], a[164:165], v[188:189], v[88:91]// 0000000089D4: D3D70058 0D6379A4
	ds_read_b128 v[232:235], v2 offset:9344                    // 0000000089DC: D9FE2480 E8000002
	v_mfma_i32_16x16x32_i8 v[88:91], a[166:167], v[190:191], v[88:91]// 0000000089E4: D3D70058 0D637DA6
	v_mfma_i32_16x16x32_i8 v[88:91], a[168:169], v[192:193], v[88:91]// 0000000089EC: D3D70058 0D6381A8
	buffer_load_dwordx4 a[52:55], v37, s[24:27], 0 offen offset:1024// 0000000089F4: E05C1400 80863425
	v_mfma_i32_16x16x32_i8 v[88:91], a[170:171], v[194:195], v[88:91]// 0000000089FC: D3D70058 0D6385AA
	v_mfma_i32_16x16x32_i8 v[88:91], a[172:173], v[196:197], v[88:91]// 000000008A04: D3D70058 0D6389AC
	ds_read_b128 v[236:239], v2 offset:9408                    // 000000008A0C: D9FE24C0 EC000002
	v_mfma_i32_16x16x32_i8 v[88:91], a[174:175], v[198:199], v[88:91]// 000000008A14: D3D70058 0D638DAE
	v_mfma_i32_16x16x32_i8 v[92:95], a[160:161], v[200:201], v[92:95]// 000000008A1C: D3D7005C 0D7391A0
	buffer_load_dwordx4 a[56:59], v37, s[24:27], 0 offen offset:2048// 000000008A24: E05C1800 80863825
	v_mfma_i32_16x16x32_i8 v[92:95], a[162:163], v[202:203], v[92:95]// 000000008A2C: D3D7005C 0D7395A2
	v_mfma_i32_16x16x32_i8 v[92:95], a[164:165], v[204:205], v[92:95]// 000000008A34: D3D7005C 0D7399A4
	ds_read_b128 v[240:243], v2 offset:9472                    // 000000008A3C: D9FE2500 F0000002
	v_mfma_i32_16x16x32_i8 v[92:95], a[166:167], v[206:207], v[92:95]// 000000008A44: D3D7005C 0D739DA6
	v_mfma_i32_16x16x32_i8 v[92:95], a[168:169], v[208:209], v[92:95]// 000000008A4C: D3D7005C 0D73A1A8
	buffer_load_dwordx4 a[60:63], v37, s[24:27], 0 offen offset:3072// 000000008A54: E05C1C00 80863C25
	v_mfma_i32_16x16x32_i8 v[92:95], a[170:171], v[210:211], v[92:95]// 000000008A5C: D3D7005C 0D73A5AA
	v_mfma_i32_16x16x32_i8 v[92:95], a[172:173], v[212:213], v[92:95]// 000000008A64: D3D7005C 0D73A9AC
	ds_read_b128 v[244:247], v2 offset:9536                    // 000000008A6C: D9FE2540 F4000002
	v_mfma_i32_16x16x32_i8 v[92:95], a[174:175], v[214:215], v[92:95]// 000000008A74: D3D7005C 0D73ADAE
	s_waitcnt vmcnt(24)                                        // 000000008A7C: BF8C4F78
	v_mfma_i32_16x16x32_i8 v[96:99], a[176:177], v[184:185], v[96:99]// 000000008A80: D3D70060 0D8371B0
	buffer_load_dwordx4 a[64:67], v38, s[24:27], 0 offen       // 000000008A88: E05C1000 80864026
	v_mfma_i32_16x16x32_i8 v[96:99], a[178:179], v[186:187], v[96:99]// 000000008A90: D3D70060 0D8375B2
	v_mfma_i32_16x16x32_i8 v[96:99], a[180:181], v[188:189], v[96:99]// 000000008A98: D3D70060 0D8379B4
	v_mfma_i32_16x16x32_i8 v[96:99], a[182:183], v[190:191], v[96:99]// 000000008AA0: D3D70060 0D837DB6
	v_mfma_i32_16x16x32_i8 v[96:99], a[184:185], v[192:193], v[96:99]// 000000008AA8: D3D70060 0D8381B8
	buffer_load_dwordx4 a[68:71], v38, s[24:27], 0 offen offset:1024// 000000008AB0: E05C1400 80864426
	v_mfma_i32_16x16x32_i8 v[96:99], a[186:187], v[194:195], v[96:99]// 000000008AB8: D3D70060 0D8385BA
	v_mfma_i32_16x16x32_i8 v[96:99], a[188:189], v[196:197], v[96:99]// 000000008AC0: D3D70060 0D8389BC
	v_mfma_i32_16x16x32_i8 v[96:99], a[190:191], v[198:199], v[96:99]// 000000008AC8: D3D70060 0D838DBE
	v_mfma_i32_16x16x32_i8 v[100:103], a[176:177], v[200:201], v[100:103]// 000000008AD0: D3D70064 0D9391B0
	buffer_load_dwordx4 a[72:75], v38, s[24:27], 0 offen offset:2048// 000000008AD8: E05C1800 80864826
	v_mfma_i32_16x16x32_i8 v[100:103], a[178:179], v[202:203], v[100:103]// 000000008AE0: D3D70064 0D9395B2
	v_mfma_i32_16x16x32_i8 v[100:103], a[180:181], v[204:205], v[100:103]// 000000008AE8: D3D70064 0D9399B4
	v_mfma_i32_16x16x32_i8 v[100:103], a[182:183], v[206:207], v[100:103]// 000000008AF0: D3D70064 0D939DB6
	v_mfma_i32_16x16x32_i8 v[100:103], a[184:185], v[208:209], v[100:103]// 000000008AF8: D3D70064 0D93A1B8
	buffer_load_dwordx4 a[76:79], v38, s[24:27], 0 offen offset:3072// 000000008B00: E05C1C00 80864C26
	v_mfma_i32_16x16x32_i8 v[100:103], a[186:187], v[210:211], v[100:103]// 000000008B08: D3D70064 0D93A5BA
	v_mfma_i32_16x16x32_i8 v[100:103], a[188:189], v[212:213], v[100:103]// 000000008B10: D3D70064 0D93A9BC
	v_mfma_i32_16x16x32_i8 v[100:103], a[190:191], v[214:215], v[100:103]// 000000008B18: D3D70064 0D93ADBE
	s_waitcnt vmcnt(24)                                        // 000000008B20: BF8C4F78
	v_mfma_i32_16x16x32_i8 v[104:107], a[192:193], v[184:185], v[104:107]// 000000008B24: D3D70068 0DA371C0
	buffer_load_dwordx4 a[80:83], v39, s[24:27], 0 offen       // 000000008B2C: E05C1000 80865027
	v_mfma_i32_16x16x32_i8 v[104:107], a[194:195], v[186:187], v[104:107]// 000000008B34: D3D70068 0DA375C2
	v_mfma_i32_16x16x32_i8 v[104:107], a[196:197], v[188:189], v[104:107]// 000000008B3C: D3D70068 0DA379C4
	v_mfma_i32_16x16x32_i8 v[104:107], a[198:199], v[190:191], v[104:107]// 000000008B44: D3D70068 0DA37DC6
	v_mfma_i32_16x16x32_i8 v[104:107], a[200:201], v[192:193], v[104:107]// 000000008B4C: D3D70068 0DA381C8
	buffer_load_dwordx4 a[84:87], v39, s[24:27], 0 offen offset:1024// 000000008B54: E05C1400 80865427
	v_mfma_i32_16x16x32_i8 v[104:107], a[202:203], v[194:195], v[104:107]// 000000008B5C: D3D70068 0DA385CA
	v_mfma_i32_16x16x32_i8 v[104:107], a[204:205], v[196:197], v[104:107]// 000000008B64: D3D70068 0DA389CC
	v_mfma_i32_16x16x32_i8 v[104:107], a[206:207], v[198:199], v[104:107]// 000000008B6C: D3D70068 0DA38DCE
	v_mfma_i32_16x16x32_i8 v[108:111], a[192:193], v[200:201], v[108:111]// 000000008B74: D3D7006C 0DB391C0
	buffer_load_dwordx4 a[88:91], v39, s[24:27], 0 offen offset:2048// 000000008B7C: E05C1800 80865827
	v_mfma_i32_16x16x32_i8 v[108:111], a[194:195], v[202:203], v[108:111]// 000000008B84: D3D7006C 0DB395C2
	v_mfma_i32_16x16x32_i8 v[108:111], a[196:197], v[204:205], v[108:111]// 000000008B8C: D3D7006C 0DB399C4
	v_mfma_i32_16x16x32_i8 v[108:111], a[198:199], v[206:207], v[108:111]// 000000008B94: D3D7006C 0DB39DC6
	v_mfma_i32_16x16x32_i8 v[108:111], a[200:201], v[208:209], v[108:111]// 000000008B9C: D3D7006C 0DB3A1C8
	buffer_load_dwordx4 a[92:95], v39, s[24:27], 0 offen offset:3072// 000000008BA4: E05C1C00 80865C27
	v_mfma_i32_16x16x32_i8 v[108:111], a[202:203], v[210:211], v[108:111]// 000000008BAC: D3D7006C 0DB3A5CA
	v_mfma_i32_16x16x32_i8 v[108:111], a[204:205], v[212:213], v[108:111]// 000000008BB4: D3D7006C 0DB3A9CC
	v_mfma_i32_16x16x32_i8 v[108:111], a[206:207], v[214:215], v[108:111]// 000000008BBC: D3D7006C 0DB3ADCE
	s_waitcnt vmcnt(24)                                        // 000000008BC4: BF8C4F78
	v_mfma_i32_16x16x32_i8 v[112:115], a[208:209], v[184:185], v[112:115]// 000000008BC8: D3D70070 0DC371D0
	buffer_load_dwordx4 a[96:99], v40, s[24:27], 0 offen       // 000000008BD0: E05C1000 80866028
	v_mfma_i32_16x16x32_i8 v[112:115], a[210:211], v[186:187], v[112:115]// 000000008BD8: D3D70070 0DC375D2
	v_mfma_i32_16x16x32_i8 v[112:115], a[212:213], v[188:189], v[112:115]// 000000008BE0: D3D70070 0DC379D4
	v_mfma_i32_16x16x32_i8 v[112:115], a[214:215], v[190:191], v[112:115]// 000000008BE8: D3D70070 0DC37DD6
	v_mfma_i32_16x16x32_i8 v[112:115], a[216:217], v[192:193], v[112:115]// 000000008BF0: D3D70070 0DC381D8
	buffer_load_dwordx4 a[100:103], v40, s[24:27], 0 offen offset:1024// 000000008BF8: E05C1400 80866428
	v_mfma_i32_16x16x32_i8 v[112:115], a[218:219], v[194:195], v[112:115]// 000000008C00: D3D70070 0DC385DA
	v_mfma_i32_16x16x32_i8 v[112:115], a[220:221], v[196:197], v[112:115]// 000000008C08: D3D70070 0DC389DC
	v_mfma_i32_16x16x32_i8 v[112:115], a[222:223], v[198:199], v[112:115]// 000000008C10: D3D70070 0DC38DDE
	v_mfma_i32_16x16x32_i8 v[116:119], a[208:209], v[200:201], v[116:119]// 000000008C18: D3D70074 0DD391D0
	buffer_load_dwordx4 a[104:107], v40, s[24:27], 0 offen offset:2048// 000000008C20: E05C1800 80866828
	v_mfma_i32_16x16x32_i8 v[116:119], a[210:211], v[202:203], v[116:119]// 000000008C28: D3D70074 0DD395D2
	v_mfma_i32_16x16x32_i8 v[116:119], a[212:213], v[204:205], v[116:119]// 000000008C30: D3D70074 0DD399D4
	v_mfma_i32_16x16x32_i8 v[116:119], a[214:215], v[206:207], v[116:119]// 000000008C38: D3D70074 0DD39DD6
	v_mfma_i32_16x16x32_i8 v[116:119], a[216:217], v[208:209], v[116:119]// 000000008C40: D3D70074 0DD3A1D8
	buffer_load_dwordx4 a[108:111], v40, s[24:27], 0 offen offset:3072// 000000008C48: E05C1C00 80866C28
	v_mfma_i32_16x16x32_i8 v[116:119], a[218:219], v[210:211], v[116:119]// 000000008C50: D3D70074 0DD3A5DA
	v_mfma_i32_16x16x32_i8 v[116:119], a[220:221], v[212:213], v[116:119]// 000000008C58: D3D70074 0DD3A9DC
	v_mfma_i32_16x16x32_i8 v[116:119], a[222:223], v[214:215], v[116:119]// 000000008C60: D3D70074 0DD3ADDE
	s_add_u32 s60, 0x200, s80                                  // 000000008C68: 803C50FF 00000200
	s_cmp_lt_u32 s60, s81                                      // 000000008C70: BF0A513C
	s_cselect_b32 s57, s57, 0                                  // 000000008C74: 85398039
	s_add_u32 s60, 0x200, s80                                  // 000000008C78: 803C50FF 00000200
	s_cmp_lt_u32 s60, s81                                      // 000000008C80: BF0A513C
	s_cselect_b32 s58, s58, 0                                  // 000000008C84: 853A803A
	s_add_u32 s20, s57, s20                                    // 000000008C88: 80141439
	s_addc_u32 s21, 0, s21                                     // 000000008C8C: 82151580
	s_add_u32 s24, s58, s24                                    // 000000008C90: 8018183A
	s_addc_u32 s25, 0, s25                                     // 000000008C94: 82191980
	s_add_u32 s92, s90, s92                                    // 000000008C98: 805C5C5A
	s_addc_u32 s93, 0, s93                                     // 000000008C9C: 825D5D80
	s_addk_i32 s80, 0x100                                      // 000000008CA0: B7500100
	s_cmp_lt_i32 s80, s81                                      // 000000008CA4: BF045150
	s_cbranch_scc0 label_1A2A                                  // 000000008CA8: BF84027F
	s_waitcnt vmcnt(20) lgkmcnt(0)                             // 000000008CAC: BF8C4074
	s_barrier                                                  // 000000008CB0: BF8A0000
	v_mfma_i32_16x16x32_i8 v[128:131], a[0:1], v[216:217], v[128:131]// 000000008CB4: D3D70080 0E03B100
	buffer_load_dwordx4 a[112:115], v34, s[92:95], 0 offen     // 000000008CBC: E05C1000 80977022
	v_mfma_i32_16x16x32_i8 v[128:131], a[2:3], v[218:219], v[128:131]// 000000008CC4: D3D70080 0E03B502
	v_mfma_i32_16x16x32_i8 v[128:131], a[4:5], v[220:221], v[128:131]// 000000008CCC: D3D70080 0E03B904
	buffer_load_dword v26, s[20:23], 0 offen lds               // 000000008CD4: E0511000 8005001A
	s_add_u32 m0, 0x100, s50                                   // 000000008CDC: 807C32FF 00000100
	v_mfma_i32_16x16x32_i8 v[128:131], a[6:7], v[222:223], v[128:131]// 000000008CE4: D3D70080 0E03BD06
	v_mfma_i32_16x16x32_i8 v[128:131], a[8:9], v[224:225], v[128:131]// 000000008CEC: D3D70080 0E03C108
	buffer_load_dwordx4 a[116:119], v34, s[92:95], 0 offen offset:1024// 000000008CF4: E05C1400 80977422
	v_mfma_i32_16x16x32_i8 v[128:131], a[10:11], v[226:227], v[128:131]// 000000008CFC: D3D70080 0E03C50A
	v_mfma_i32_16x16x32_i8 v[128:131], a[12:13], v[228:229], v[128:131]// 000000008D04: D3D70080 0E03C90C
	buffer_load_dword v27, s[20:23], 0 offen lds               // 000000008D0C: E0511000 8005001B
	s_add_u32 m0, 0x200, s50                                   // 000000008D14: 807C32FF 00000200
	v_mfma_i32_16x16x32_i8 v[128:131], a[14:15], v[230:231], v[128:131]// 000000008D1C: D3D70080 0E03CD0E
	v_mfma_i32_16x16x32_i8 v[132:135], a[0:1], v[232:233], v[132:135]// 000000008D24: D3D70084 0E13D100
	buffer_load_dwordx4 a[120:123], v34, s[92:95], 0 offen offset:2048// 000000008D2C: E05C1800 80977822
	v_mfma_i32_16x16x32_i8 v[132:135], a[2:3], v[234:235], v[132:135]// 000000008D34: D3D70084 0E13D502
	v_mfma_i32_16x16x32_i8 v[132:135], a[4:5], v[236:237], v[132:135]// 000000008D3C: D3D70084 0E13D904
	buffer_load_dword v28, s[20:23], 0 offen lds               // 000000008D44: E0511000 8005001C
	s_add_u32 m0, 0x300, s50                                   // 000000008D4C: 807C32FF 00000300
	v_mfma_i32_16x16x32_i8 v[132:135], a[6:7], v[238:239], v[132:135]// 000000008D54: D3D70084 0E13DD06
	v_mfma_i32_16x16x32_i8 v[132:135], a[8:9], v[240:241], v[132:135]// 000000008D5C: D3D70084 0E13E108
	buffer_load_dwordx4 a[124:127], v34, s[92:95], 0 offen offset:3072// 000000008D64: E05C1C00 80977C22
	v_mfma_i32_16x16x32_i8 v[132:135], a[10:11], v[242:243], v[132:135]// 000000008D6C: D3D70084 0E13E50A
	v_mfma_i32_16x16x32_i8 v[132:135], a[12:13], v[244:245], v[132:135]// 000000008D74: D3D70084 0E13E90C
	buffer_load_dword v29, s[20:23], 0 offen lds               // 000000008D7C: E0511000 8005001D
	s_add_u32 m0, 0x400, s50                                   // 000000008D84: 807C32FF 00000400
	v_mfma_i32_16x16x32_i8 v[132:135], a[14:15], v[246:247], v[132:135]// 000000008D8C: D3D70084 0E13ED0E
	v_mfma_i32_16x16x32_i8 v[136:139], a[16:17], v[216:217], v[136:139]// 000000008D94: D3D70088 0E23B110
	buffer_load_dwordx4 a[128:131], v35, s[92:95], 0 offen     // 000000008D9C: E05C1000 80978023
	v_mfma_i32_16x16x32_i8 v[136:139], a[18:19], v[218:219], v[136:139]// 000000008DA4: D3D70088 0E23B512
	v_mfma_i32_16x16x32_i8 v[136:139], a[20:21], v[220:221], v[136:139]// 000000008DAC: D3D70088 0E23B914
	buffer_load_dword v30, s[20:23], 0 offen lds               // 000000008DB4: E0511000 8005001E
	s_add_u32 m0, 0x500, s50                                   // 000000008DBC: 807C32FF 00000500
	v_mfma_i32_16x16x32_i8 v[136:139], a[22:23], v[222:223], v[136:139]// 000000008DC4: D3D70088 0E23BD16
	v_mfma_i32_16x16x32_i8 v[136:139], a[24:25], v[224:225], v[136:139]// 000000008DCC: D3D70088 0E23C118
	buffer_load_dwordx4 a[132:135], v35, s[92:95], 0 offen offset:1024// 000000008DD4: E05C1400 80978423
	v_mfma_i32_16x16x32_i8 v[136:139], a[26:27], v[226:227], v[136:139]// 000000008DDC: D3D70088 0E23C51A
	v_mfma_i32_16x16x32_i8 v[136:139], a[28:29], v[228:229], v[136:139]// 000000008DE4: D3D70088 0E23C91C
	buffer_load_dword v31, s[20:23], 0 offen lds               // 000000008DEC: E0511000 8005001F
	s_add_u32 m0, 0x600, s50                                   // 000000008DF4: 807C32FF 00000600
	v_mfma_i32_16x16x32_i8 v[136:139], a[30:31], v[230:231], v[136:139]// 000000008DFC: D3D70088 0E23CD1E
	v_mfma_i32_16x16x32_i8 v[140:143], a[16:17], v[232:233], v[140:143]// 000000008E04: D3D7008C 0E33D110
	buffer_load_dwordx4 a[136:139], v35, s[92:95], 0 offen offset:2048// 000000008E0C: E05C1800 80978823
	v_mfma_i32_16x16x32_i8 v[140:143], a[18:19], v[234:235], v[140:143]// 000000008E14: D3D7008C 0E33D512
	v_mfma_i32_16x16x32_i8 v[140:143], a[20:21], v[236:237], v[140:143]// 000000008E1C: D3D7008C 0E33D914
	buffer_load_dword v32, s[20:23], 0 offen lds               // 000000008E24: E0511000 80050020
	s_add_u32 m0, 0x700, s50                                   // 000000008E2C: 807C32FF 00000700
	v_mfma_i32_16x16x32_i8 v[140:143], a[22:23], v[238:239], v[140:143]// 000000008E34: D3D7008C 0E33DD16
	v_mfma_i32_16x16x32_i8 v[140:143], a[24:25], v[240:241], v[140:143]// 000000008E3C: D3D7008C 0E33E118
	buffer_load_dwordx4 a[140:143], v35, s[92:95], 0 offen offset:3072// 000000008E44: E05C1C00 80978C23
	v_mfma_i32_16x16x32_i8 v[140:143], a[26:27], v[242:243], v[140:143]// 000000008E4C: D3D7008C 0E33E51A
	v_mfma_i32_16x16x32_i8 v[140:143], a[28:29], v[244:245], v[140:143]// 000000008E54: D3D7008C 0E33E91C
	buffer_load_dword v33, s[20:23], 0 offen lds               // 000000008E5C: E0511000 80050021
	s_add_u32 m0, 0, s51                                       // 000000008E64: 807C3380
	v_mfma_i32_16x16x32_i8 v[140:143], a[30:31], v[246:247], v[140:143]// 000000008E68: D3D7008C 0E33ED1E
	s_waitcnt vmcnt(32)                                        // 000000008E70: BF8C8F70
	v_mfma_i32_16x16x32_i8 v[144:147], a[32:33], v[216:217], v[144:147]// 000000008E74: D3D70090 0E43B120
	buffer_load_dwordx4 a[144:147], v36, s[92:95], 0 offen     // 000000008E7C: E05C1000 80979024
	v_mfma_i32_16x16x32_i8 v[144:147], a[34:35], v[218:219], v[144:147]// 000000008E84: D3D70090 0E43B522
	v_mfma_i32_16x16x32_i8 v[144:147], a[36:37], v[220:221], v[144:147]// 000000008E8C: D3D70090 0E43B924
	v_mfma_i32_16x16x32_i8 v[144:147], a[38:39], v[222:223], v[144:147]// 000000008E94: D3D70090 0E43BD26
	v_mfma_i32_16x16x32_i8 v[144:147], a[40:41], v[224:225], v[144:147]// 000000008E9C: D3D70090 0E43C128
	buffer_load_dwordx4 a[148:151], v36, s[92:95], 0 offen offset:1024// 000000008EA4: E05C1400 80979424
	v_mfma_i32_16x16x32_i8 v[144:147], a[42:43], v[226:227], v[144:147]// 000000008EAC: D3D70090 0E43C52A
	v_mfma_i32_16x16x32_i8 v[144:147], a[44:45], v[228:229], v[144:147]// 000000008EB4: D3D70090 0E43C92C
	v_mfma_i32_16x16x32_i8 v[144:147], a[46:47], v[230:231], v[144:147]// 000000008EBC: D3D70090 0E43CD2E
	v_mfma_i32_16x16x32_i8 v[148:151], a[32:33], v[232:233], v[148:151]// 000000008EC4: D3D70094 0E53D120
	buffer_load_dwordx4 a[152:155], v36, s[92:95], 0 offen offset:2048// 000000008ECC: E05C1800 80979824
	v_mfma_i32_16x16x32_i8 v[148:151], a[34:35], v[234:235], v[148:151]// 000000008ED4: D3D70094 0E53D522
	v_mfma_i32_16x16x32_i8 v[148:151], a[36:37], v[236:237], v[148:151]// 000000008EDC: D3D70094 0E53D924
	v_mfma_i32_16x16x32_i8 v[148:151], a[38:39], v[238:239], v[148:151]// 000000008EE4: D3D70094 0E53DD26
	v_mfma_i32_16x16x32_i8 v[148:151], a[40:41], v[240:241], v[148:151]// 000000008EEC: D3D70094 0E53E128
	buffer_load_dwordx4 a[156:159], v36, s[92:95], 0 offen offset:3072// 000000008EF4: E05C1C00 80979C24
	v_mfma_i32_16x16x32_i8 v[148:151], a[42:43], v[242:243], v[148:151]// 000000008EFC: D3D70094 0E53E52A
	v_mfma_i32_16x16x32_i8 v[148:151], a[44:45], v[244:245], v[148:151]// 000000008F04: D3D70094 0E53E92C
	v_mfma_i32_16x16x32_i8 v[148:151], a[46:47], v[246:247], v[148:151]// 000000008F0C: D3D70094 0E53ED2E
	s_waitcnt vmcnt(32)                                        // 000000008F14: BF8C8F70
	v_mfma_i32_16x16x32_i8 v[152:155], a[48:49], v[216:217], v[152:155]// 000000008F18: D3D70098 0E63B130
	buffer_load_dwordx4 a[160:163], v37, s[92:95], 0 offen     // 000000008F20: E05C1000 8097A025
	v_mfma_i32_16x16x32_i8 v[152:155], a[50:51], v[218:219], v[152:155]// 000000008F28: D3D70098 0E63B532
	v_mfma_i32_16x16x32_i8 v[152:155], a[52:53], v[220:221], v[152:155]// 000000008F30: D3D70098 0E63B934
	v_mfma_i32_16x16x32_i8 v[152:155], a[54:55], v[222:223], v[152:155]// 000000008F38: D3D70098 0E63BD36
	v_mfma_i32_16x16x32_i8 v[152:155], a[56:57], v[224:225], v[152:155]// 000000008F40: D3D70098 0E63C138
	buffer_load_dwordx4 a[164:167], v37, s[92:95], 0 offen offset:1024// 000000008F48: E05C1400 8097A425
	v_mfma_i32_16x16x32_i8 v[152:155], a[58:59], v[226:227], v[152:155]// 000000008F50: D3D70098 0E63C53A
	v_mfma_i32_16x16x32_i8 v[152:155], a[60:61], v[228:229], v[152:155]// 000000008F58: D3D70098 0E63C93C
	v_mfma_i32_16x16x32_i8 v[152:155], a[62:63], v[230:231], v[152:155]// 000000008F60: D3D70098 0E63CD3E
	v_mfma_i32_16x16x32_i8 v[156:159], a[48:49], v[232:233], v[156:159]// 000000008F68: D3D7009C 0E73D130
	buffer_load_dwordx4 a[168:171], v37, s[92:95], 0 offen offset:2048// 000000008F70: E05C1800 8097A825
	v_mfma_i32_16x16x32_i8 v[156:159], a[50:51], v[234:235], v[156:159]// 000000008F78: D3D7009C 0E73D532
	v_mfma_i32_16x16x32_i8 v[156:159], a[52:53], v[236:237], v[156:159]// 000000008F80: D3D7009C 0E73D934
	v_mfma_i32_16x16x32_i8 v[156:159], a[54:55], v[238:239], v[156:159]// 000000008F88: D3D7009C 0E73DD36
	v_mfma_i32_16x16x32_i8 v[156:159], a[56:57], v[240:241], v[156:159]// 000000008F90: D3D7009C 0E73E138
	buffer_load_dwordx4 a[172:175], v37, s[92:95], 0 offen offset:3072// 000000008F98: E05C1C00 8097AC25
	v_mfma_i32_16x16x32_i8 v[156:159], a[58:59], v[242:243], v[156:159]// 000000008FA0: D3D7009C 0E73E53A
	v_mfma_i32_16x16x32_i8 v[156:159], a[60:61], v[244:245], v[156:159]// 000000008FA8: D3D7009C 0E73E93C
	v_mfma_i32_16x16x32_i8 v[156:159], a[62:63], v[246:247], v[156:159]// 000000008FB0: D3D7009C 0E73ED3E
	s_waitcnt vmcnt(32)                                        // 000000008FB8: BF8C8F70
	v_mfma_i32_16x16x32_i8 v[160:163], a[64:65], v[216:217], v[160:163]// 000000008FBC: D3D700A0 0E83B140
	buffer_load_dwordx4 a[176:179], v38, s[92:95], 0 offen     // 000000008FC4: E05C1000 8097B026
	v_mfma_i32_16x16x32_i8 v[160:163], a[66:67], v[218:219], v[160:163]// 000000008FCC: D3D700A0 0E83B542
	v_mfma_i32_16x16x32_i8 v[160:163], a[68:69], v[220:221], v[160:163]// 000000008FD4: D3D700A0 0E83B944
	v_mfma_i32_16x16x32_i8 v[160:163], a[70:71], v[222:223], v[160:163]// 000000008FDC: D3D700A0 0E83BD46
	v_mfma_i32_16x16x32_i8 v[160:163], a[72:73], v[224:225], v[160:163]// 000000008FE4: D3D700A0 0E83C148
	buffer_load_dwordx4 a[180:183], v38, s[92:95], 0 offen offset:1024// 000000008FEC: E05C1400 8097B426
	v_mfma_i32_16x16x32_i8 v[160:163], a[74:75], v[226:227], v[160:163]// 000000008FF4: D3D700A0 0E83C54A
	v_mfma_i32_16x16x32_i8 v[160:163], a[76:77], v[228:229], v[160:163]// 000000008FFC: D3D700A0 0E83C94C
	v_mfma_i32_16x16x32_i8 v[160:163], a[78:79], v[230:231], v[160:163]// 000000009004: D3D700A0 0E83CD4E
	v_mfma_i32_16x16x32_i8 v[164:167], a[64:65], v[232:233], v[164:167]// 00000000900C: D3D700A4 0E93D140
	buffer_load_dwordx4 a[184:187], v38, s[92:95], 0 offen offset:2048// 000000009014: E05C1800 8097B826
	v_mfma_i32_16x16x32_i8 v[164:167], a[66:67], v[234:235], v[164:167]// 00000000901C: D3D700A4 0E93D542
	v_mfma_i32_16x16x32_i8 v[164:167], a[68:69], v[236:237], v[164:167]// 000000009024: D3D700A4 0E93D944
	v_mfma_i32_16x16x32_i8 v[164:167], a[70:71], v[238:239], v[164:167]// 00000000902C: D3D700A4 0E93DD46
	v_mfma_i32_16x16x32_i8 v[164:167], a[72:73], v[240:241], v[164:167]// 000000009034: D3D700A4 0E93E148
	buffer_load_dwordx4 a[188:191], v38, s[92:95], 0 offen offset:3072// 00000000903C: E05C1C00 8097BC26
	v_mfma_i32_16x16x32_i8 v[164:167], a[74:75], v[242:243], v[164:167]// 000000009044: D3D700A4 0E93E54A
	v_mfma_i32_16x16x32_i8 v[164:167], a[76:77], v[244:245], v[164:167]// 00000000904C: D3D700A4 0E93E94C
	v_mfma_i32_16x16x32_i8 v[164:167], a[78:79], v[246:247], v[164:167]// 000000009054: D3D700A4 0E93ED4E
	s_waitcnt vmcnt(32)                                        // 00000000905C: BF8C8F70
	v_mfma_i32_16x16x32_i8 v[168:171], a[80:81], v[216:217], v[168:171]// 000000009060: D3D700A8 0EA3B150
	buffer_load_dwordx4 a[192:195], v39, s[92:95], 0 offen     // 000000009068: E05C1000 8097C027
	v_mfma_i32_16x16x32_i8 v[168:171], a[82:83], v[218:219], v[168:171]// 000000009070: D3D700A8 0EA3B552
	v_mfma_i32_16x16x32_i8 v[168:171], a[84:85], v[220:221], v[168:171]// 000000009078: D3D700A8 0EA3B954
	v_mfma_i32_16x16x32_i8 v[168:171], a[86:87], v[222:223], v[168:171]// 000000009080: D3D700A8 0EA3BD56
	v_mfma_i32_16x16x32_i8 v[168:171], a[88:89], v[224:225], v[168:171]// 000000009088: D3D700A8 0EA3C158
	buffer_load_dwordx4 a[196:199], v39, s[92:95], 0 offen offset:1024// 000000009090: E05C1400 8097C427
	v_mfma_i32_16x16x32_i8 v[168:171], a[90:91], v[226:227], v[168:171]// 000000009098: D3D700A8 0EA3C55A
	v_mfma_i32_16x16x32_i8 v[168:171], a[92:93], v[228:229], v[168:171]// 0000000090A0: D3D700A8 0EA3C95C
	v_mfma_i32_16x16x32_i8 v[168:171], a[94:95], v[230:231], v[168:171]// 0000000090A8: D3D700A8 0EA3CD5E
	v_mfma_i32_16x16x32_i8 v[172:175], a[80:81], v[232:233], v[172:175]// 0000000090B0: D3D700AC 0EB3D150
	buffer_load_dwordx4 a[200:203], v39, s[92:95], 0 offen offset:2048// 0000000090B8: E05C1800 8097C827
	v_mfma_i32_16x16x32_i8 v[172:175], a[82:83], v[234:235], v[172:175]// 0000000090C0: D3D700AC 0EB3D552
	v_mfma_i32_16x16x32_i8 v[172:175], a[84:85], v[236:237], v[172:175]// 0000000090C8: D3D700AC 0EB3D954
	v_mfma_i32_16x16x32_i8 v[172:175], a[86:87], v[238:239], v[172:175]// 0000000090D0: D3D700AC 0EB3DD56
	v_mfma_i32_16x16x32_i8 v[172:175], a[88:89], v[240:241], v[172:175]// 0000000090D8: D3D700AC 0EB3E158
	buffer_load_dwordx4 a[204:207], v39, s[92:95], 0 offen offset:3072// 0000000090E0: E05C1C00 8097CC27
	v_mfma_i32_16x16x32_i8 v[172:175], a[90:91], v[242:243], v[172:175]// 0000000090E8: D3D700AC 0EB3E55A
	v_mfma_i32_16x16x32_i8 v[172:175], a[92:93], v[244:245], v[172:175]// 0000000090F0: D3D700AC 0EB3E95C
	v_mfma_i32_16x16x32_i8 v[172:175], a[94:95], v[246:247], v[172:175]// 0000000090F8: D3D700AC 0EB3ED5E
	s_waitcnt vmcnt(32)                                        // 000000009100: BF8C8F70
	v_mfma_i32_16x16x32_i8 v[176:179], a[96:97], v[216:217], v[176:179]// 000000009104: D3D700B0 0EC3B160
	buffer_load_dwordx4 a[208:211], v40, s[92:95], 0 offen     // 00000000910C: E05C1000 8097D028
	v_mfma_i32_16x16x32_i8 v[176:179], a[98:99], v[218:219], v[176:179]// 000000009114: D3D700B0 0EC3B562
	v_mfma_i32_16x16x32_i8 v[176:179], a[100:101], v[220:221], v[176:179]// 00000000911C: D3D700B0 0EC3B964
	v_mfma_i32_16x16x32_i8 v[176:179], a[102:103], v[222:223], v[176:179]// 000000009124: D3D700B0 0EC3BD66
	v_mfma_i32_16x16x32_i8 v[176:179], a[104:105], v[224:225], v[176:179]// 00000000912C: D3D700B0 0EC3C168
	buffer_load_dwordx4 a[212:215], v40, s[92:95], 0 offen offset:1024// 000000009134: E05C1400 8097D428
	v_mfma_i32_16x16x32_i8 v[176:179], a[106:107], v[226:227], v[176:179]// 00000000913C: D3D700B0 0EC3C56A
	v_mfma_i32_16x16x32_i8 v[176:179], a[108:109], v[228:229], v[176:179]// 000000009144: D3D700B0 0EC3C96C
	v_mfma_i32_16x16x32_i8 v[176:179], a[110:111], v[230:231], v[176:179]// 00000000914C: D3D700B0 0EC3CD6E
	v_mfma_i32_16x16x32_i8 v[180:183], a[96:97], v[232:233], v[180:183]// 000000009154: D3D700B4 0ED3D160
	buffer_load_dwordx4 a[216:219], v40, s[92:95], 0 offen offset:2048// 00000000915C: E05C1800 8097D828
	v_mfma_i32_16x16x32_i8 v[180:183], a[98:99], v[234:235], v[180:183]// 000000009164: D3D700B4 0ED3D562
	v_mfma_i32_16x16x32_i8 v[180:183], a[100:101], v[236:237], v[180:183]// 00000000916C: D3D700B4 0ED3D964
	v_mfma_i32_16x16x32_i8 v[180:183], a[102:103], v[238:239], v[180:183]// 000000009174: D3D700B4 0ED3DD66
	v_mfma_i32_16x16x32_i8 v[180:183], a[104:105], v[240:241], v[180:183]// 00000000917C: D3D700B4 0ED3E168
	buffer_load_dwordx4 a[220:223], v40, s[92:95], 0 offen offset:3072// 000000009184: E05C1C00 8097DC28
	v_mfma_i32_16x16x32_i8 v[180:183], a[106:107], v[242:243], v[180:183]// 00000000918C: D3D700B4 0ED3E56A
	v_mfma_i32_16x16x32_i8 v[180:183], a[108:109], v[244:245], v[180:183]// 000000009194: D3D700B4 0ED3E96C
	v_mfma_i32_16x16x32_i8 v[180:183], a[110:111], v[246:247], v[180:183]// 00000000919C: D3D700B4 0ED3ED6E
	s_waitcnt vmcnt(20)                                        // 0000000091A4: BF8C4F74
	s_barrier                                                  // 0000000091A8: BF8A0000
	v_mfma_i32_16x16x32_i8 v[64:67], a[112:113], v[216:217], v[64:67]// 0000000091AC: D3D70040 0D03B170
	buffer_load_dwordx4 a[0:3], v34, s[24:27], 0 offen         // 0000000091B4: E05C1000 80860022
	v_mfma_i32_16x16x32_i8 v[64:67], a[114:115], v[218:219], v[64:67]// 0000000091BC: D3D70040 0D03B572
	v_mfma_i32_16x16x32_i8 v[64:67], a[116:117], v[220:221], v[64:67]// 0000000091C4: D3D70040 0D03B974
	v_mfma_i32_16x16x32_i8 v[64:67], a[118:119], v[222:223], v[64:67]// 0000000091CC: D3D70040 0D03BD76
	v_mfma_i32_16x16x32_i8 v[64:67], a[120:121], v[224:225], v[64:67]// 0000000091D4: D3D70040 0D03C178
	buffer_load_dwordx4 a[4:7], v34, s[24:27], 0 offen offset:1024// 0000000091DC: E05C1400 80860422
	v_mfma_i32_16x16x32_i8 v[64:67], a[122:123], v[226:227], v[64:67]// 0000000091E4: D3D70040 0D03C57A
	v_mfma_i32_16x16x32_i8 v[64:67], a[124:125], v[228:229], v[64:67]// 0000000091EC: D3D70040 0D03C97C
	v_mfma_i32_16x16x32_i8 v[64:67], a[126:127], v[230:231], v[64:67]// 0000000091F4: D3D70040 0D03CD7E
	v_mfma_i32_16x16x32_i8 v[68:71], a[112:113], v[232:233], v[68:71]// 0000000091FC: D3D70044 0D13D170
	buffer_load_dwordx4 a[8:11], v34, s[24:27], 0 offen offset:2048// 000000009204: E05C1800 80860822
	v_mfma_i32_16x16x32_i8 v[68:71], a[114:115], v[234:235], v[68:71]// 00000000920C: D3D70044 0D13D572
	v_mfma_i32_16x16x32_i8 v[68:71], a[116:117], v[236:237], v[68:71]// 000000009214: D3D70044 0D13D974
	v_mfma_i32_16x16x32_i8 v[68:71], a[118:119], v[238:239], v[68:71]// 00000000921C: D3D70044 0D13DD76
	v_mfma_i32_16x16x32_i8 v[68:71], a[120:121], v[240:241], v[68:71]// 000000009224: D3D70044 0D13E178
	buffer_load_dwordx4 a[12:15], v34, s[24:27], 0 offen offset:3072// 00000000922C: E05C1C00 80860C22
	v_mfma_i32_16x16x32_i8 v[68:71], a[122:123], v[242:243], v[68:71]// 000000009234: D3D70044 0D13E57A
	v_mfma_i32_16x16x32_i8 v[68:71], a[124:125], v[244:245], v[68:71]// 00000000923C: D3D70044 0D13E97C
	v_mfma_i32_16x16x32_i8 v[68:71], a[126:127], v[246:247], v[68:71]// 000000009244: D3D70044 0D13ED7E
	v_mfma_i32_16x16x32_i8 v[72:75], a[128:129], v[216:217], v[72:75]// 00000000924C: D3D70048 0D23B180
	buffer_load_dwordx4 a[16:19], v35, s[24:27], 0 offen       // 000000009254: E05C1000 80861023
	v_mfma_i32_16x16x32_i8 v[72:75], a[130:131], v[218:219], v[72:75]// 00000000925C: D3D70048 0D23B582
	v_mfma_i32_16x16x32_i8 v[72:75], a[132:133], v[220:221], v[72:75]// 000000009264: D3D70048 0D23B984
	v_mfma_i32_16x16x32_i8 v[72:75], a[134:135], v[222:223], v[72:75]// 00000000926C: D3D70048 0D23BD86
	v_mfma_i32_16x16x32_i8 v[72:75], a[136:137], v[224:225], v[72:75]// 000000009274: D3D70048 0D23C188
	buffer_load_dwordx4 a[20:23], v35, s[24:27], 0 offen offset:1024// 00000000927C: E05C1400 80861423
	v_mfma_i32_16x16x32_i8 v[72:75], a[138:139], v[226:227], v[72:75]// 000000009284: D3D70048 0D23C58A
	v_mfma_i32_16x16x32_i8 v[72:75], a[140:141], v[228:229], v[72:75]// 00000000928C: D3D70048 0D23C98C
	v_mfma_i32_16x16x32_i8 v[72:75], a[142:143], v[230:231], v[72:75]// 000000009294: D3D70048 0D23CD8E
	v_mfma_i32_16x16x32_i8 v[76:79], a[128:129], v[232:233], v[76:79]// 00000000929C: D3D7004C 0D33D180
	buffer_load_dwordx4 a[24:27], v35, s[24:27], 0 offen offset:2048// 0000000092A4: E05C1800 80861823
	v_mfma_i32_16x16x32_i8 v[76:79], a[130:131], v[234:235], v[76:79]// 0000000092AC: D3D7004C 0D33D582
	v_mfma_i32_16x16x32_i8 v[76:79], a[132:133], v[236:237], v[76:79]// 0000000092B4: D3D7004C 0D33D984
	v_mfma_i32_16x16x32_i8 v[76:79], a[134:135], v[238:239], v[76:79]// 0000000092BC: D3D7004C 0D33DD86
	v_mfma_i32_16x16x32_i8 v[76:79], a[136:137], v[240:241], v[76:79]// 0000000092C4: D3D7004C 0D33E188
	buffer_load_dwordx4 a[28:31], v35, s[24:27], 0 offen offset:3072// 0000000092CC: E05C1C00 80861C23
	v_mfma_i32_16x16x32_i8 v[76:79], a[138:139], v[242:243], v[76:79]// 0000000092D4: D3D7004C 0D33E58A
	v_mfma_i32_16x16x32_i8 v[76:79], a[140:141], v[244:245], v[76:79]// 0000000092DC: D3D7004C 0D33E98C
	v_mfma_i32_16x16x32_i8 v[76:79], a[142:143], v[246:247], v[76:79]// 0000000092E4: D3D7004C 0D33ED8E
	s_waitcnt vmcnt(24)                                        // 0000000092EC: BF8C4F78
	v_mfma_i32_16x16x32_i8 v[80:83], a[144:145], v[216:217], v[80:83]// 0000000092F0: D3D70050 0D43B190
	buffer_load_dwordx4 a[32:35], v36, s[24:27], 0 offen       // 0000000092F8: E05C1000 80862024
	v_mfma_i32_16x16x32_i8 v[80:83], a[146:147], v[218:219], v[80:83]// 000000009300: D3D70050 0D43B592
	v_mfma_i32_16x16x32_i8 v[80:83], a[148:149], v[220:221], v[80:83]// 000000009308: D3D70050 0D43B994
	ds_read_b128 v[184:187], v2                                // 000000009310: D9FE0000 B8000002
	v_mfma_i32_16x16x32_i8 v[80:83], a[150:151], v[222:223], v[80:83]// 000000009318: D3D70050 0D43BD96
	v_mfma_i32_16x16x32_i8 v[80:83], a[152:153], v[224:225], v[80:83]// 000000009320: D3D70050 0D43C198
	buffer_load_dwordx4 a[36:39], v36, s[24:27], 0 offen offset:1024// 000000009328: E05C1400 80862424
	v_mfma_i32_16x16x32_i8 v[80:83], a[154:155], v[226:227], v[80:83]// 000000009330: D3D70050 0D43C59A
	v_mfma_i32_16x16x32_i8 v[80:83], a[156:157], v[228:229], v[80:83]// 000000009338: D3D70050 0D43C99C
	ds_read_b128 v[188:191], v2 offset:64                      // 000000009340: D9FE0040 BC000002
	v_mfma_i32_16x16x32_i8 v[80:83], a[158:159], v[230:231], v[80:83]// 000000009348: D3D70050 0D43CD9E
	v_mfma_i32_16x16x32_i8 v[84:87], a[144:145], v[232:233], v[84:87]// 000000009350: D3D70054 0D53D190
	buffer_load_dwordx4 a[40:43], v36, s[24:27], 0 offen offset:2048// 000000009358: E05C1800 80862824
	v_mfma_i32_16x16x32_i8 v[84:87], a[146:147], v[234:235], v[84:87]// 000000009360: D3D70054 0D53D592
	v_mfma_i32_16x16x32_i8 v[84:87], a[148:149], v[236:237], v[84:87]// 000000009368: D3D70054 0D53D994
	ds_read_b128 v[192:195], v2 offset:128                     // 000000009370: D9FE0080 C0000002
	v_mfma_i32_16x16x32_i8 v[84:87], a[150:151], v[238:239], v[84:87]// 000000009378: D3D70054 0D53DD96
	v_mfma_i32_16x16x32_i8 v[84:87], a[152:153], v[240:241], v[84:87]// 000000009380: D3D70054 0D53E198
	buffer_load_dwordx4 a[44:47], v36, s[24:27], 0 offen offset:3072// 000000009388: E05C1C00 80862C24
	v_mfma_i32_16x16x32_i8 v[84:87], a[154:155], v[242:243], v[84:87]// 000000009390: D3D70054 0D53E59A
	v_mfma_i32_16x16x32_i8 v[84:87], a[156:157], v[244:245], v[84:87]// 000000009398: D3D70054 0D53E99C
	ds_read_b128 v[196:199], v2 offset:192                     // 0000000093A0: D9FE00C0 C4000002
	v_mfma_i32_16x16x32_i8 v[84:87], a[158:159], v[246:247], v[84:87]// 0000000093A8: D3D70054 0D53ED9E
	s_waitcnt vmcnt(24)                                        // 0000000093B0: BF8C4F78
	v_mfma_i32_16x16x32_i8 v[88:91], a[160:161], v[216:217], v[88:91]// 0000000093B4: D3D70058 0D63B1A0
	buffer_load_dwordx4 a[48:51], v37, s[24:27], 0 offen       // 0000000093BC: E05C1000 80863025
	v_mfma_i32_16x16x32_i8 v[88:91], a[162:163], v[218:219], v[88:91]// 0000000093C4: D3D70058 0D63B5A2
	v_mfma_i32_16x16x32_i8 v[88:91], a[164:165], v[220:221], v[88:91]// 0000000093CC: D3D70058 0D63B9A4
	ds_read_b128 v[200:203], v2 offset:1024                    // 0000000093D4: D9FE0400 C8000002
	v_mfma_i32_16x16x32_i8 v[88:91], a[166:167], v[222:223], v[88:91]// 0000000093DC: D3D70058 0D63BDA6
	v_mfma_i32_16x16x32_i8 v[88:91], a[168:169], v[224:225], v[88:91]// 0000000093E4: D3D70058 0D63C1A8
	buffer_load_dwordx4 a[52:55], v37, s[24:27], 0 offen offset:1024// 0000000093EC: E05C1400 80863425
	v_mfma_i32_16x16x32_i8 v[88:91], a[170:171], v[226:227], v[88:91]// 0000000093F4: D3D70058 0D63C5AA
	v_mfma_i32_16x16x32_i8 v[88:91], a[172:173], v[228:229], v[88:91]// 0000000093FC: D3D70058 0D63C9AC
	ds_read_b128 v[204:207], v2 offset:1088                    // 000000009404: D9FE0440 CC000002
	v_mfma_i32_16x16x32_i8 v[88:91], a[174:175], v[230:231], v[88:91]// 00000000940C: D3D70058 0D63CDAE
	v_mfma_i32_16x16x32_i8 v[92:95], a[160:161], v[232:233], v[92:95]// 000000009414: D3D7005C 0D73D1A0
	buffer_load_dwordx4 a[56:59], v37, s[24:27], 0 offen offset:2048// 00000000941C: E05C1800 80863825
	v_mfma_i32_16x16x32_i8 v[92:95], a[162:163], v[234:235], v[92:95]// 000000009424: D3D7005C 0D73D5A2
	v_mfma_i32_16x16x32_i8 v[92:95], a[164:165], v[236:237], v[92:95]// 00000000942C: D3D7005C 0D73D9A4
	ds_read_b128 v[208:211], v2 offset:1152                    // 000000009434: D9FE0480 D0000002
	v_mfma_i32_16x16x32_i8 v[92:95], a[166:167], v[238:239], v[92:95]// 00000000943C: D3D7005C 0D73DDA6
	v_mfma_i32_16x16x32_i8 v[92:95], a[168:169], v[240:241], v[92:95]// 000000009444: D3D7005C 0D73E1A8
	buffer_load_dwordx4 a[60:63], v37, s[24:27], 0 offen offset:3072// 00000000944C: E05C1C00 80863C25
	v_mfma_i32_16x16x32_i8 v[92:95], a[170:171], v[242:243], v[92:95]// 000000009454: D3D7005C 0D73E5AA
	v_mfma_i32_16x16x32_i8 v[92:95], a[172:173], v[244:245], v[92:95]// 00000000945C: D3D7005C 0D73E9AC
	ds_read_b128 v[212:215], v2 offset:1216                    // 000000009464: D9FE04C0 D4000002
	v_mfma_i32_16x16x32_i8 v[92:95], a[174:175], v[246:247], v[92:95]// 00000000946C: D3D7005C 0D73EDAE
	s_waitcnt vmcnt(24)                                        // 000000009474: BF8C4F78
	v_mfma_i32_16x16x32_i8 v[96:99], a[176:177], v[216:217], v[96:99]// 000000009478: D3D70060 0D83B1B0
	buffer_load_dwordx4 a[64:67], v38, s[24:27], 0 offen       // 000000009480: E05C1000 80864026
	v_mfma_i32_16x16x32_i8 v[96:99], a[178:179], v[218:219], v[96:99]// 000000009488: D3D70060 0D83B5B2
	v_mfma_i32_16x16x32_i8 v[96:99], a[180:181], v[220:221], v[96:99]// 000000009490: D3D70060 0D83B9B4
	v_mfma_i32_16x16x32_i8 v[96:99], a[182:183], v[222:223], v[96:99]// 000000009498: D3D70060 0D83BDB6
	v_mfma_i32_16x16x32_i8 v[96:99], a[184:185], v[224:225], v[96:99]// 0000000094A0: D3D70060 0D83C1B8
	buffer_load_dwordx4 a[68:71], v38, s[24:27], 0 offen offset:1024// 0000000094A8: E05C1400 80864426
	v_mfma_i32_16x16x32_i8 v[96:99], a[186:187], v[226:227], v[96:99]// 0000000094B0: D3D70060 0D83C5BA
	v_mfma_i32_16x16x32_i8 v[96:99], a[188:189], v[228:229], v[96:99]// 0000000094B8: D3D70060 0D83C9BC
	v_mfma_i32_16x16x32_i8 v[96:99], a[190:191], v[230:231], v[96:99]// 0000000094C0: D3D70060 0D83CDBE
	v_mfma_i32_16x16x32_i8 v[100:103], a[176:177], v[232:233], v[100:103]// 0000000094C8: D3D70064 0D93D1B0
	buffer_load_dwordx4 a[72:75], v38, s[24:27], 0 offen offset:2048// 0000000094D0: E05C1800 80864826
	v_mfma_i32_16x16x32_i8 v[100:103], a[178:179], v[234:235], v[100:103]// 0000000094D8: D3D70064 0D93D5B2
	v_mfma_i32_16x16x32_i8 v[100:103], a[180:181], v[236:237], v[100:103]// 0000000094E0: D3D70064 0D93D9B4
	v_mfma_i32_16x16x32_i8 v[100:103], a[182:183], v[238:239], v[100:103]// 0000000094E8: D3D70064 0D93DDB6
	v_mfma_i32_16x16x32_i8 v[100:103], a[184:185], v[240:241], v[100:103]// 0000000094F0: D3D70064 0D93E1B8
	buffer_load_dwordx4 a[76:79], v38, s[24:27], 0 offen offset:3072// 0000000094F8: E05C1C00 80864C26
	v_mfma_i32_16x16x32_i8 v[100:103], a[186:187], v[242:243], v[100:103]// 000000009500: D3D70064 0D93E5BA
	v_mfma_i32_16x16x32_i8 v[100:103], a[188:189], v[244:245], v[100:103]// 000000009508: D3D70064 0D93E9BC
	v_mfma_i32_16x16x32_i8 v[100:103], a[190:191], v[246:247], v[100:103]// 000000009510: D3D70064 0D93EDBE
	s_waitcnt vmcnt(24)                                        // 000000009518: BF8C4F78
	v_mfma_i32_16x16x32_i8 v[104:107], a[192:193], v[216:217], v[104:107]// 00000000951C: D3D70068 0DA3B1C0
	buffer_load_dwordx4 a[80:83], v39, s[24:27], 0 offen       // 000000009524: E05C1000 80865027
	v_mfma_i32_16x16x32_i8 v[104:107], a[194:195], v[218:219], v[104:107]// 00000000952C: D3D70068 0DA3B5C2
	v_mfma_i32_16x16x32_i8 v[104:107], a[196:197], v[220:221], v[104:107]// 000000009534: D3D70068 0DA3B9C4
	v_mfma_i32_16x16x32_i8 v[104:107], a[198:199], v[222:223], v[104:107]// 00000000953C: D3D70068 0DA3BDC6
	v_mfma_i32_16x16x32_i8 v[104:107], a[200:201], v[224:225], v[104:107]// 000000009544: D3D70068 0DA3C1C8
	buffer_load_dwordx4 a[84:87], v39, s[24:27], 0 offen offset:1024// 00000000954C: E05C1400 80865427
	v_mfma_i32_16x16x32_i8 v[104:107], a[202:203], v[226:227], v[104:107]// 000000009554: D3D70068 0DA3C5CA
	v_mfma_i32_16x16x32_i8 v[104:107], a[204:205], v[228:229], v[104:107]// 00000000955C: D3D70068 0DA3C9CC
	v_mfma_i32_16x16x32_i8 v[104:107], a[206:207], v[230:231], v[104:107]// 000000009564: D3D70068 0DA3CDCE
	v_mfma_i32_16x16x32_i8 v[108:111], a[192:193], v[232:233], v[108:111]// 00000000956C: D3D7006C 0DB3D1C0
	buffer_load_dwordx4 a[88:91], v39, s[24:27], 0 offen offset:2048// 000000009574: E05C1800 80865827
	v_mfma_i32_16x16x32_i8 v[108:111], a[194:195], v[234:235], v[108:111]// 00000000957C: D3D7006C 0DB3D5C2
	v_mfma_i32_16x16x32_i8 v[108:111], a[196:197], v[236:237], v[108:111]// 000000009584: D3D7006C 0DB3D9C4
	v_mfma_i32_16x16x32_i8 v[108:111], a[198:199], v[238:239], v[108:111]// 00000000958C: D3D7006C 0DB3DDC6
	v_mfma_i32_16x16x32_i8 v[108:111], a[200:201], v[240:241], v[108:111]// 000000009594: D3D7006C 0DB3E1C8
	buffer_load_dwordx4 a[92:95], v39, s[24:27], 0 offen offset:3072// 00000000959C: E05C1C00 80865C27
	v_mfma_i32_16x16x32_i8 v[108:111], a[202:203], v[242:243], v[108:111]// 0000000095A4: D3D7006C 0DB3E5CA
	v_mfma_i32_16x16x32_i8 v[108:111], a[204:205], v[244:245], v[108:111]// 0000000095AC: D3D7006C 0DB3E9CC
	v_mfma_i32_16x16x32_i8 v[108:111], a[206:207], v[246:247], v[108:111]// 0000000095B4: D3D7006C 0DB3EDCE
	s_waitcnt vmcnt(24)                                        // 0000000095BC: BF8C4F78
	v_mfma_i32_16x16x32_i8 v[112:115], a[208:209], v[216:217], v[112:115]// 0000000095C0: D3D70070 0DC3B1D0
	buffer_load_dwordx4 a[96:99], v40, s[24:27], 0 offen       // 0000000095C8: E05C1000 80866028
	v_mfma_i32_16x16x32_i8 v[112:115], a[210:211], v[218:219], v[112:115]// 0000000095D0: D3D70070 0DC3B5D2
	v_mfma_i32_16x16x32_i8 v[112:115], a[212:213], v[220:221], v[112:115]// 0000000095D8: D3D70070 0DC3B9D4
	v_mfma_i32_16x16x32_i8 v[112:115], a[214:215], v[222:223], v[112:115]// 0000000095E0: D3D70070 0DC3BDD6
	v_mfma_i32_16x16x32_i8 v[112:115], a[216:217], v[224:225], v[112:115]// 0000000095E8: D3D70070 0DC3C1D8
	buffer_load_dwordx4 a[100:103], v40, s[24:27], 0 offen offset:1024// 0000000095F0: E05C1400 80866428
	v_mfma_i32_16x16x32_i8 v[112:115], a[218:219], v[226:227], v[112:115]// 0000000095F8: D3D70070 0DC3C5DA
	v_mfma_i32_16x16x32_i8 v[112:115], a[220:221], v[228:229], v[112:115]// 000000009600: D3D70070 0DC3C9DC
	v_mfma_i32_16x16x32_i8 v[112:115], a[222:223], v[230:231], v[112:115]// 000000009608: D3D70070 0DC3CDDE
	v_mfma_i32_16x16x32_i8 v[116:119], a[208:209], v[232:233], v[116:119]// 000000009610: D3D70074 0DD3D1D0
	buffer_load_dwordx4 a[104:107], v40, s[24:27], 0 offen offset:2048// 000000009618: E05C1800 80866828
	v_mfma_i32_16x16x32_i8 v[116:119], a[210:211], v[234:235], v[116:119]// 000000009620: D3D70074 0DD3D5D2
	v_mfma_i32_16x16x32_i8 v[116:119], a[212:213], v[236:237], v[116:119]// 000000009628: D3D70074 0DD3D9D4
	v_mfma_i32_16x16x32_i8 v[116:119], a[214:215], v[238:239], v[116:119]// 000000009630: D3D70074 0DD3DDD6
	v_mfma_i32_16x16x32_i8 v[116:119], a[216:217], v[240:241], v[116:119]// 000000009638: D3D70074 0DD3E1D8
	buffer_load_dwordx4 a[108:111], v40, s[24:27], 0 offen offset:3072// 000000009640: E05C1C00 80866C28
	v_mfma_i32_16x16x32_i8 v[116:119], a[218:219], v[242:243], v[116:119]// 000000009648: D3D70074 0DD3E5DA
	v_mfma_i32_16x16x32_i8 v[116:119], a[220:221], v[244:245], v[116:119]// 000000009650: D3D70074 0DD3E9DC
	v_mfma_i32_16x16x32_i8 v[116:119], a[222:223], v[246:247], v[116:119]// 000000009658: D3D70074 0DD3EDDE
	s_add_u32 s60, 0x200, s80                                  // 000000009660: 803C50FF 00000200
	s_cmp_lt_u32 s60, s81                                      // 000000009668: BF0A513C
	s_cselect_b32 s57, s57, 0                                  // 00000000966C: 85398039
	s_add_u32 s60, 0x200, s80                                  // 000000009670: 803C50FF 00000200
	s_cmp_lt_u32 s60, s81                                      // 000000009678: BF0A513C
	s_cselect_b32 s58, s58, 0                                  // 00000000967C: 853A803A
	s_add_u32 s20, s57, s20                                    // 000000009680: 80141439
	s_addc_u32 s21, 0, s21                                     // 000000009684: 82151580
	s_add_u32 s24, s58, s24                                    // 000000009688: 8018183A
	s_addc_u32 s25, 0, s25                                     // 00000000968C: 82191980
	s_add_u32 s92, s90, s92                                    // 000000009690: 805C5C5A
	s_addc_u32 s93, 0, s93                                     // 000000009694: 825D5D80
	s_addk_i32 s80, 0x100                                      // 000000009698: B7500100
	s_cmp_lt_i32 s80, s81                                      // 00000000969C: BF045150
	s_cbranch_scc0 label_1A2A                                  // 0000000096A0: BF840001
	s_branch label_152D                                        // 0000000096A4: BF82FB03

00000000000096a8 <label_1A2A>:
	s_mov_b32 s36, -1                                          // 0000000096A8: BEA400C1
	s_mov_b32 s37, -1                                          // 0000000096AC: BEA500C1
	s_mov_b64 s[60:61], 0                                      // 0000000096B0: BEBC0180
	s_cmp_lt_u32 s82, s66                                      // 0000000096B4: BF0A4252
	s_cselect_b64 s[20:21], s[36:37], s[60:61]                 // 0000000096B8: 85943C24
	s_cmp_lt_u32 s83, s66                                      // 0000000096BC: BF0A4253
	s_cselect_b64 s[22:23], s[36:37], s[60:61]                 // 0000000096C0: 85963C24
	s_cmp_lt_u32 s84, s66                                      // 0000000096C4: BF0A4254
	s_cselect_b64 s[24:25], s[36:37], s[60:61]                 // 0000000096C8: 85983C24
	s_cmp_lt_u32 s85, s66                                      // 0000000096CC: BF0A4255
	s_cselect_b64 s[26:27], s[36:37], s[60:61]                 // 0000000096D0: 859A3C24
	s_cmp_lt_u32 s86, s66                                      // 0000000096D4: BF0A4256
	s_cselect_b64 s[28:29], s[36:37], s[60:61]                 // 0000000096D8: 859C3C24
	s_cmp_lt_u32 s87, s66                                      // 0000000096DC: BF0A4257
	s_cselect_b64 s[30:31], s[36:37], s[60:61]                 // 0000000096E0: 859E3C24
	s_cmp_lt_u32 s88, s66                                      // 0000000096E4: BF0A4258
	s_cselect_b64 s[32:33], s[36:37], s[60:61]                 // 0000000096E8: 85A03C24
	s_cmp_lt_u32 s89, s66                                      // 0000000096EC: BF0A4259
	s_cselect_b64 s[34:35], s[36:37], s[60:61]                 // 0000000096F0: 85A23C24
	v_cvt_f32_i32_e32 v128, v128                               // 0000000096F4: 7F000B80
	v_cvt_f32_i32_e32 v129, v129                               // 0000000096F8: 7F020B81
	v_cvt_f32_i32_e32 v130, v130                               // 0000000096FC: 7F040B82
	v_cvt_f32_i32_e32 v131, v131                               // 000000009700: 7F060B83
	v_mul_f32_e32 v128, v14, v128                              // 000000009704: 0B01010E
	v_mul_f32_e32 v129, v14, v129                              // 000000009708: 0B03030E
	v_mul_f32_e32 v130, v14, v130                              // 00000000970C: 0B05050E
	v_mul_f32_e32 v131, v14, v131                              // 000000009710: 0B07070E
	v_mul_f32_dpp v128, v16, v128 row_newbcast:0 row_mask:0xf bank_mask:0xf// 000000009714: 0B0100FA FF015010
	v_mul_f32_dpp v129, v16, v129 row_newbcast:1 row_mask:0xf bank_mask:0xf// 00000000971C: 0B0302FA FF015110
	v_mul_f32_dpp v130, v16, v130 row_newbcast:2 row_mask:0xf bank_mask:0xf// 000000009724: 0B0504FA FF015210
	v_mul_f32_dpp v131, v16, v131 row_newbcast:3 row_mask:0xf bank_mask:0xf// 00000000972C: 0B0706FA FF015310
	v_cvt_f32_i32_e32 v132, v132                               // 000000009734: 7F080B84
	v_cvt_f32_i32_e32 v133, v133                               // 000000009738: 7F0A0B85
	v_cvt_f32_i32_e32 v134, v134                               // 00000000973C: 7F0C0B86
	v_cvt_f32_i32_e32 v135, v135                               // 000000009740: 7F0E0B87
	v_mul_f32_e32 v132, v15, v132                              // 000000009744: 0B09090F
	v_mul_f32_e32 v133, v15, v133                              // 000000009748: 0B0B0B0F
	v_mul_f32_e32 v134, v15, v134                              // 00000000974C: 0B0D0D0F
	v_mul_f32_e32 v135, v15, v135                              // 000000009750: 0B0F0F0F
	v_mul_f32_dpp v132, v16, v132 row_newbcast:0 row_mask:0xf bank_mask:0xf// 000000009754: 0B0908FA FF015010
	v_mul_f32_dpp v133, v16, v133 row_newbcast:1 row_mask:0xf bank_mask:0xf// 00000000975C: 0B0B0AFA FF015110
	v_mul_f32_dpp v134, v16, v134 row_newbcast:2 row_mask:0xf bank_mask:0xf// 000000009764: 0B0D0CFA FF015210
	v_mul_f32_dpp v135, v16, v135 row_newbcast:3 row_mask:0xf bank_mask:0xf// 00000000976C: 0B0F0EFA FF015310
	v_cvt_f32_i32_e32 v136, v136                               // 000000009774: 7F100B88
	v_cvt_f32_i32_e32 v137, v137                               // 000000009778: 7F120B89
	v_cvt_f32_i32_e32 v138, v138                               // 00000000977C: 7F140B8A
	v_cvt_f32_i32_e32 v139, v139                               // 000000009780: 7F160B8B
	v_mul_f32_e32 v136, v14, v136                              // 000000009784: 0B11110E
	v_mul_f32_e32 v137, v14, v137                              // 000000009788: 0B13130E
	v_mul_f32_e32 v138, v14, v138                              // 00000000978C: 0B15150E
	v_mul_f32_e32 v139, v14, v139                              // 000000009790: 0B17170E
	v_mul_f32_dpp v136, v16, v136 row_newbcast:4 row_mask:0xf bank_mask:0xf// 000000009794: 0B1110FA FF015410
	v_mul_f32_dpp v137, v16, v137 row_newbcast:5 row_mask:0xf bank_mask:0xf// 00000000979C: 0B1312FA FF015510
	v_mul_f32_dpp v138, v16, v138 row_newbcast:6 row_mask:0xf bank_mask:0xf// 0000000097A4: 0B1514FA FF015610
	v_mul_f32_dpp v139, v16, v139 row_newbcast:7 row_mask:0xf bank_mask:0xf// 0000000097AC: 0B1716FA FF015710
	v_cvt_f32_i32_e32 v140, v140                               // 0000000097B4: 7F180B8C
	v_cvt_f32_i32_e32 v141, v141                               // 0000000097B8: 7F1A0B8D
	v_cvt_f32_i32_e32 v142, v142                               // 0000000097BC: 7F1C0B8E
	v_cvt_f32_i32_e32 v143, v143                               // 0000000097C0: 7F1E0B8F
	v_mul_f32_e32 v140, v15, v140                              // 0000000097C4: 0B19190F
	v_mul_f32_e32 v141, v15, v141                              // 0000000097C8: 0B1B1B0F
	v_mul_f32_e32 v142, v15, v142                              // 0000000097CC: 0B1D1D0F
	v_mul_f32_e32 v143, v15, v143                              // 0000000097D0: 0B1F1F0F
	v_mul_f32_dpp v140, v16, v140 row_newbcast:4 row_mask:0xf bank_mask:0xf// 0000000097D4: 0B1918FA FF015410
	v_mul_f32_dpp v141, v16, v141 row_newbcast:5 row_mask:0xf bank_mask:0xf// 0000000097DC: 0B1B1AFA FF015510
	v_mul_f32_dpp v142, v16, v142 row_newbcast:6 row_mask:0xf bank_mask:0xf// 0000000097E4: 0B1D1CFA FF015610
	v_mul_f32_dpp v143, v16, v143 row_newbcast:7 row_mask:0xf bank_mask:0xf// 0000000097EC: 0B1F1EFA FF015710
	v_cvt_f32_i32_e32 v144, v144                               // 0000000097F4: 7F200B90
	v_cvt_f32_i32_e32 v145, v145                               // 0000000097F8: 7F220B91
	v_cvt_f32_i32_e32 v146, v146                               // 0000000097FC: 7F240B92
	v_cvt_f32_i32_e32 v147, v147                               // 000000009800: 7F260B93
	v_mul_f32_e32 v144, v14, v144                              // 000000009804: 0B21210E
	v_mul_f32_e32 v145, v14, v145                              // 000000009808: 0B23230E
	v_mul_f32_e32 v146, v14, v146                              // 00000000980C: 0B25250E
	v_mul_f32_e32 v147, v14, v147                              // 000000009810: 0B27270E
	v_mul_f32_dpp v144, v16, v144 row_newbcast:8 row_mask:0xf bank_mask:0xf// 000000009814: 0B2120FA FF015810
	v_mul_f32_dpp v145, v16, v145 row_newbcast:9 row_mask:0xf bank_mask:0xf// 00000000981C: 0B2322FA FF015910
	v_mul_f32_dpp v146, v16, v146 row_newbcast:10 row_mask:0xf bank_mask:0xf// 000000009824: 0B2524FA FF015A10
	v_mul_f32_dpp v147, v16, v147 row_newbcast:11 row_mask:0xf bank_mask:0xf// 00000000982C: 0B2726FA FF015B10
	v_cvt_f32_i32_e32 v148, v148                               // 000000009834: 7F280B94
	v_cvt_f32_i32_e32 v149, v149                               // 000000009838: 7F2A0B95
	v_cvt_f32_i32_e32 v150, v150                               // 00000000983C: 7F2C0B96
	v_cvt_f32_i32_e32 v151, v151                               // 000000009840: 7F2E0B97
	v_mul_f32_e32 v148, v15, v148                              // 000000009844: 0B29290F
	v_mul_f32_e32 v149, v15, v149                              // 000000009848: 0B2B2B0F
	v_mul_f32_e32 v150, v15, v150                              // 00000000984C: 0B2D2D0F
	v_mul_f32_e32 v151, v15, v151                              // 000000009850: 0B2F2F0F
	v_mul_f32_dpp v148, v16, v148 row_newbcast:8 row_mask:0xf bank_mask:0xf// 000000009854: 0B2928FA FF015810
	v_mul_f32_dpp v149, v16, v149 row_newbcast:9 row_mask:0xf bank_mask:0xf// 00000000985C: 0B2B2AFA FF015910
	v_mul_f32_dpp v150, v16, v150 row_newbcast:10 row_mask:0xf bank_mask:0xf// 000000009864: 0B2D2CFA FF015A10
	v_mul_f32_dpp v151, v16, v151 row_newbcast:11 row_mask:0xf bank_mask:0xf// 00000000986C: 0B2F2EFA FF015B10
	v_cvt_f32_i32_e32 v152, v152                               // 000000009874: 7F300B98
	v_cvt_f32_i32_e32 v153, v153                               // 000000009878: 7F320B99
	v_cvt_f32_i32_e32 v154, v154                               // 00000000987C: 7F340B9A
	v_cvt_f32_i32_e32 v155, v155                               // 000000009880: 7F360B9B
	v_mul_f32_e32 v152, v14, v152                              // 000000009884: 0B31310E
	v_mul_f32_e32 v153, v14, v153                              // 000000009888: 0B33330E
	v_mul_f32_e32 v154, v14, v154                              // 00000000988C: 0B35350E
	v_mul_f32_e32 v155, v14, v155                              // 000000009890: 0B37370E
	v_mul_f32_dpp v152, v16, v152 row_newbcast:12 row_mask:0xf bank_mask:0xf// 000000009894: 0B3130FA FF015C10
	v_mul_f32_dpp v153, v16, v153 row_newbcast:13 row_mask:0xf bank_mask:0xf// 00000000989C: 0B3332FA FF015D10
	v_mul_f32_dpp v154, v16, v154 row_newbcast:14 row_mask:0xf bank_mask:0xf// 0000000098A4: 0B3534FA FF015E10
	v_mul_f32_dpp v155, v16, v155 row_newbcast:15 row_mask:0xf bank_mask:0xf// 0000000098AC: 0B3736FA FF015F10
	v_cvt_f32_i32_e32 v156, v156                               // 0000000098B4: 7F380B9C
	v_cvt_f32_i32_e32 v157, v157                               // 0000000098B8: 7F3A0B9D
	v_cvt_f32_i32_e32 v158, v158                               // 0000000098BC: 7F3C0B9E
	v_cvt_f32_i32_e32 v159, v159                               // 0000000098C0: 7F3E0B9F
	v_mul_f32_e32 v156, v15, v156                              // 0000000098C4: 0B39390F
	v_mul_f32_e32 v157, v15, v157                              // 0000000098C8: 0B3B3B0F
	v_mul_f32_e32 v158, v15, v158                              // 0000000098CC: 0B3D3D0F
	v_mul_f32_e32 v159, v15, v159                              // 0000000098D0: 0B3F3F0F
	v_mul_f32_dpp v156, v16, v156 row_newbcast:12 row_mask:0xf bank_mask:0xf// 0000000098D4: 0B3938FA FF015C10
	v_mul_f32_dpp v157, v16, v157 row_newbcast:13 row_mask:0xf bank_mask:0xf// 0000000098DC: 0B3B3AFA FF015D10
	v_mul_f32_dpp v158, v16, v158 row_newbcast:14 row_mask:0xf bank_mask:0xf// 0000000098E4: 0B3D3CFA FF015E10
	v_mul_f32_dpp v159, v16, v159 row_newbcast:15 row_mask:0xf bank_mask:0xf// 0000000098EC: 0B3F3EFA FF015F10
	v_cvt_f32_i32_e32 v160, v160                               // 0000000098F4: 7F400BA0
	v_cvt_f32_i32_e32 v161, v161                               // 0000000098F8: 7F420BA1
	v_cvt_f32_i32_e32 v162, v162                               // 0000000098FC: 7F440BA2
	v_cvt_f32_i32_e32 v163, v163                               // 000000009900: 7F460BA3
	v_mul_f32_e32 v160, v14, v160                              // 000000009904: 0B41410E
	v_mul_f32_e32 v161, v14, v161                              // 000000009908: 0B43430E
	v_mul_f32_e32 v162, v14, v162                              // 00000000990C: 0B45450E
	v_mul_f32_e32 v163, v14, v163                              // 000000009910: 0B47470E
	v_mul_f32_dpp v160, v17, v160 row_newbcast:0 row_mask:0xf bank_mask:0xf// 000000009914: 0B4140FA FF015011
	v_mul_f32_dpp v161, v17, v161 row_newbcast:1 row_mask:0xf bank_mask:0xf// 00000000991C: 0B4342FA FF015111
	v_mul_f32_dpp v162, v17, v162 row_newbcast:2 row_mask:0xf bank_mask:0xf// 000000009924: 0B4544FA FF015211
	v_mul_f32_dpp v163, v17, v163 row_newbcast:3 row_mask:0xf bank_mask:0xf// 00000000992C: 0B4746FA FF015311
	v_cvt_f32_i32_e32 v164, v164                               // 000000009934: 7F480BA4
	v_cvt_f32_i32_e32 v165, v165                               // 000000009938: 7F4A0BA5
	v_cvt_f32_i32_e32 v166, v166                               // 00000000993C: 7F4C0BA6
	v_cvt_f32_i32_e32 v167, v167                               // 000000009940: 7F4E0BA7
	v_mul_f32_e32 v164, v15, v164                              // 000000009944: 0B49490F
	v_mul_f32_e32 v165, v15, v165                              // 000000009948: 0B4B4B0F
	v_mul_f32_e32 v166, v15, v166                              // 00000000994C: 0B4D4D0F
	v_mul_f32_e32 v167, v15, v167                              // 000000009950: 0B4F4F0F
	v_mul_f32_dpp v164, v17, v164 row_newbcast:0 row_mask:0xf bank_mask:0xf// 000000009954: 0B4948FA FF015011
	v_mul_f32_dpp v165, v17, v165 row_newbcast:1 row_mask:0xf bank_mask:0xf// 00000000995C: 0B4B4AFA FF015111
	v_mul_f32_dpp v166, v17, v166 row_newbcast:2 row_mask:0xf bank_mask:0xf// 000000009964: 0B4D4CFA FF015211
	v_mul_f32_dpp v167, v17, v167 row_newbcast:3 row_mask:0xf bank_mask:0xf// 00000000996C: 0B4F4EFA FF015311
	v_cvt_f32_i32_e32 v168, v168                               // 000000009974: 7F500BA8
	v_cvt_f32_i32_e32 v169, v169                               // 000000009978: 7F520BA9
	v_cvt_f32_i32_e32 v170, v170                               // 00000000997C: 7F540BAA
	v_cvt_f32_i32_e32 v171, v171                               // 000000009980: 7F560BAB
	v_mul_f32_e32 v168, v14, v168                              // 000000009984: 0B51510E
	v_mul_f32_e32 v169, v14, v169                              // 000000009988: 0B53530E
	v_mul_f32_e32 v170, v14, v170                              // 00000000998C: 0B55550E
	v_mul_f32_e32 v171, v14, v171                              // 000000009990: 0B57570E
	v_mul_f32_dpp v168, v17, v168 row_newbcast:4 row_mask:0xf bank_mask:0xf// 000000009994: 0B5150FA FF015411
	v_mul_f32_dpp v169, v17, v169 row_newbcast:5 row_mask:0xf bank_mask:0xf// 00000000999C: 0B5352FA FF015511
	v_mul_f32_dpp v170, v17, v170 row_newbcast:6 row_mask:0xf bank_mask:0xf// 0000000099A4: 0B5554FA FF015611
	v_mul_f32_dpp v171, v17, v171 row_newbcast:7 row_mask:0xf bank_mask:0xf// 0000000099AC: 0B5756FA FF015711
	v_cvt_f32_i32_e32 v172, v172                               // 0000000099B4: 7F580BAC
	v_cvt_f32_i32_e32 v173, v173                               // 0000000099B8: 7F5A0BAD
	v_cvt_f32_i32_e32 v174, v174                               // 0000000099BC: 7F5C0BAE
	v_cvt_f32_i32_e32 v175, v175                               // 0000000099C0: 7F5E0BAF
	v_mul_f32_e32 v172, v15, v172                              // 0000000099C4: 0B59590F
	v_mul_f32_e32 v173, v15, v173                              // 0000000099C8: 0B5B5B0F
	v_mul_f32_e32 v174, v15, v174                              // 0000000099CC: 0B5D5D0F
	v_mul_f32_e32 v175, v15, v175                              // 0000000099D0: 0B5F5F0F
	v_mul_f32_dpp v172, v17, v172 row_newbcast:4 row_mask:0xf bank_mask:0xf// 0000000099D4: 0B5958FA FF015411
	v_mul_f32_dpp v173, v17, v173 row_newbcast:5 row_mask:0xf bank_mask:0xf// 0000000099DC: 0B5B5AFA FF015511
	v_mul_f32_dpp v174, v17, v174 row_newbcast:6 row_mask:0xf bank_mask:0xf// 0000000099E4: 0B5D5CFA FF015611
	v_mul_f32_dpp v175, v17, v175 row_newbcast:7 row_mask:0xf bank_mask:0xf// 0000000099EC: 0B5F5EFA FF015711
	v_cvt_f32_i32_e32 v176, v176                               // 0000000099F4: 7F600BB0
	v_cvt_f32_i32_e32 v177, v177                               // 0000000099F8: 7F620BB1
	v_cvt_f32_i32_e32 v178, v178                               // 0000000099FC: 7F640BB2
	v_cvt_f32_i32_e32 v179, v179                               // 000000009A00: 7F660BB3
	v_mul_f32_e32 v176, v14, v176                              // 000000009A04: 0B61610E
	v_mul_f32_e32 v177, v14, v177                              // 000000009A08: 0B63630E
	v_mul_f32_e32 v178, v14, v178                              // 000000009A0C: 0B65650E
	v_mul_f32_e32 v179, v14, v179                              // 000000009A10: 0B67670E
	v_mul_f32_dpp v176, v17, v176 row_newbcast:8 row_mask:0xf bank_mask:0xf// 000000009A14: 0B6160FA FF015811
	v_mul_f32_dpp v177, v17, v177 row_newbcast:9 row_mask:0xf bank_mask:0xf// 000000009A1C: 0B6362FA FF015911
	v_mul_f32_dpp v178, v17, v178 row_newbcast:10 row_mask:0xf bank_mask:0xf// 000000009A24: 0B6564FA FF015A11
	v_mul_f32_dpp v179, v17, v179 row_newbcast:11 row_mask:0xf bank_mask:0xf// 000000009A2C: 0B6766FA FF015B11
	v_cvt_f32_i32_e32 v180, v180                               // 000000009A34: 7F680BB4
	v_cvt_f32_i32_e32 v181, v181                               // 000000009A38: 7F6A0BB5
	v_cvt_f32_i32_e32 v182, v182                               // 000000009A3C: 7F6C0BB6
	v_cvt_f32_i32_e32 v183, v183                               // 000000009A40: 7F6E0BB7
	v_mul_f32_e32 v180, v15, v180                              // 000000009A44: 0B69690F
	v_mul_f32_e32 v181, v15, v181                              // 000000009A48: 0B6B6B0F
	v_mul_f32_e32 v182, v15, v182                              // 000000009A4C: 0B6D6D0F
	v_mul_f32_e32 v183, v15, v183                              // 000000009A50: 0B6F6F0F
	v_mul_f32_dpp v180, v17, v180 row_newbcast:8 row_mask:0xf bank_mask:0xf// 000000009A54: 0B6968FA FF015811
	v_mul_f32_dpp v181, v17, v181 row_newbcast:9 row_mask:0xf bank_mask:0xf// 000000009A5C: 0B6B6AFA FF015911
	v_mul_f32_dpp v182, v17, v182 row_newbcast:10 row_mask:0xf bank_mask:0xf// 000000009A64: 0B6D6CFA FF015A11
	v_mul_f32_dpp v183, v17, v183 row_newbcast:11 row_mask:0xf bank_mask:0xf// 000000009A6C: 0B6F6EFA FF015B11
	v_cvt_f32_i32_e32 v64, v64                                 // 000000009A74: 7E800B40
	v_cvt_f32_i32_e32 v65, v65                                 // 000000009A78: 7E820B41
	v_cvt_f32_i32_e32 v66, v66                                 // 000000009A7C: 7E840B42
	v_cvt_f32_i32_e32 v67, v67                                 // 000000009A80: 7E860B43
	v_mul_f32_e32 v64, v14, v64                                // 000000009A84: 0A80810E
	v_mul_f32_e32 v65, v14, v65                                // 000000009A88: 0A82830E
	v_mul_f32_e32 v66, v14, v66                                // 000000009A8C: 0A84850E
	v_mul_f32_e32 v67, v14, v67                                // 000000009A90: 0A86870E
	v_mul_f32_dpp v64, v49, v64 row_newbcast:0 row_mask:0xf bank_mask:0xf// 000000009A94: 0A8080FA FF015031
	v_mul_f32_dpp v65, v49, v65 row_newbcast:1 row_mask:0xf bank_mask:0xf// 000000009A9C: 0A8282FA FF015131
	v_mul_f32_dpp v66, v49, v66 row_newbcast:2 row_mask:0xf bank_mask:0xf// 000000009AA4: 0A8484FA FF015231
	v_mul_f32_dpp v67, v49, v67 row_newbcast:3 row_mask:0xf bank_mask:0xf// 000000009AAC: 0A8686FA FF015331
	v_cvt_f32_i32_e32 v68, v68                                 // 000000009AB4: 7E880B44
	v_cvt_f32_i32_e32 v69, v69                                 // 000000009AB8: 7E8A0B45
	v_cvt_f32_i32_e32 v70, v70                                 // 000000009ABC: 7E8C0B46
	v_cvt_f32_i32_e32 v71, v71                                 // 000000009AC0: 7E8E0B47
	v_mul_f32_e32 v68, v15, v68                                // 000000009AC4: 0A88890F
	v_mul_f32_e32 v69, v15, v69                                // 000000009AC8: 0A8A8B0F
	v_mul_f32_e32 v70, v15, v70                                // 000000009ACC: 0A8C8D0F
	v_mul_f32_e32 v71, v15, v71                                // 000000009AD0: 0A8E8F0F
	v_mul_f32_dpp v68, v49, v68 row_newbcast:0 row_mask:0xf bank_mask:0xf// 000000009AD4: 0A8888FA FF015031
	v_mul_f32_dpp v69, v49, v69 row_newbcast:1 row_mask:0xf bank_mask:0xf// 000000009ADC: 0A8A8AFA FF015131
	v_mul_f32_dpp v70, v49, v70 row_newbcast:2 row_mask:0xf bank_mask:0xf// 000000009AE4: 0A8C8CFA FF015231
	v_mul_f32_dpp v71, v49, v71 row_newbcast:3 row_mask:0xf bank_mask:0xf// 000000009AEC: 0A8E8EFA FF015331
	v_cvt_f32_i32_e32 v72, v72                                 // 000000009AF4: 7E900B48
	v_cvt_f32_i32_e32 v73, v73                                 // 000000009AF8: 7E920B49
	v_cvt_f32_i32_e32 v74, v74                                 // 000000009AFC: 7E940B4A
	v_cvt_f32_i32_e32 v75, v75                                 // 000000009B00: 7E960B4B
	v_mul_f32_e32 v72, v14, v72                                // 000000009B04: 0A90910E
	v_mul_f32_e32 v73, v14, v73                                // 000000009B08: 0A92930E
	v_mul_f32_e32 v74, v14, v74                                // 000000009B0C: 0A94950E
	v_mul_f32_e32 v75, v14, v75                                // 000000009B10: 0A96970E
	v_mul_f32_dpp v72, v49, v72 row_newbcast:4 row_mask:0xf bank_mask:0xf// 000000009B14: 0A9090FA FF015431
	v_mul_f32_dpp v73, v49, v73 row_newbcast:5 row_mask:0xf bank_mask:0xf// 000000009B1C: 0A9292FA FF015531
	v_mul_f32_dpp v74, v49, v74 row_newbcast:6 row_mask:0xf bank_mask:0xf// 000000009B24: 0A9494FA FF015631
	v_mul_f32_dpp v75, v49, v75 row_newbcast:7 row_mask:0xf bank_mask:0xf// 000000009B2C: 0A9696FA FF015731
	v_cvt_f32_i32_e32 v76, v76                                 // 000000009B34: 7E980B4C
	v_cvt_f32_i32_e32 v77, v77                                 // 000000009B38: 7E9A0B4D
	v_cvt_f32_i32_e32 v78, v78                                 // 000000009B3C: 7E9C0B4E
	v_cvt_f32_i32_e32 v79, v79                                 // 000000009B40: 7E9E0B4F
	v_mul_f32_e32 v76, v15, v76                                // 000000009B44: 0A98990F
	v_mul_f32_e32 v77, v15, v77                                // 000000009B48: 0A9A9B0F
	v_mul_f32_e32 v78, v15, v78                                // 000000009B4C: 0A9C9D0F
	v_mul_f32_e32 v79, v15, v79                                // 000000009B50: 0A9E9F0F
	v_mul_f32_dpp v76, v49, v76 row_newbcast:4 row_mask:0xf bank_mask:0xf// 000000009B54: 0A9898FA FF015431
	v_mul_f32_dpp v77, v49, v77 row_newbcast:5 row_mask:0xf bank_mask:0xf// 000000009B5C: 0A9A9AFA FF015531
	v_mul_f32_dpp v78, v49, v78 row_newbcast:6 row_mask:0xf bank_mask:0xf// 000000009B64: 0A9C9CFA FF015631
	v_mul_f32_dpp v79, v49, v79 row_newbcast:7 row_mask:0xf bank_mask:0xf// 000000009B6C: 0A9E9EFA FF015731
	v_cvt_f32_i32_e32 v80, v80                                 // 000000009B74: 7EA00B50
	v_cvt_f32_i32_e32 v81, v81                                 // 000000009B78: 7EA20B51
	v_cvt_f32_i32_e32 v82, v82                                 // 000000009B7C: 7EA40B52
	v_cvt_f32_i32_e32 v83, v83                                 // 000000009B80: 7EA60B53
	v_mul_f32_e32 v80, v14, v80                                // 000000009B84: 0AA0A10E
	v_mul_f32_e32 v81, v14, v81                                // 000000009B88: 0AA2A30E
	v_mul_f32_e32 v82, v14, v82                                // 000000009B8C: 0AA4A50E
	v_mul_f32_e32 v83, v14, v83                                // 000000009B90: 0AA6A70E
	v_mul_f32_dpp v80, v49, v80 row_newbcast:8 row_mask:0xf bank_mask:0xf// 000000009B94: 0AA0A0FA FF015831
	v_mul_f32_dpp v81, v49, v81 row_newbcast:9 row_mask:0xf bank_mask:0xf// 000000009B9C: 0AA2A2FA FF015931
	v_mul_f32_dpp v82, v49, v82 row_newbcast:10 row_mask:0xf bank_mask:0xf// 000000009BA4: 0AA4A4FA FF015A31
	v_mul_f32_dpp v83, v49, v83 row_newbcast:11 row_mask:0xf bank_mask:0xf// 000000009BAC: 0AA6A6FA FF015B31
	v_cvt_f32_i32_e32 v84, v84                                 // 000000009BB4: 7EA80B54
	v_cvt_f32_i32_e32 v85, v85                                 // 000000009BB8: 7EAA0B55
	v_cvt_f32_i32_e32 v86, v86                                 // 000000009BBC: 7EAC0B56
	v_cvt_f32_i32_e32 v87, v87                                 // 000000009BC0: 7EAE0B57
	v_mul_f32_e32 v84, v15, v84                                // 000000009BC4: 0AA8A90F
	v_mul_f32_e32 v85, v15, v85                                // 000000009BC8: 0AAAAB0F
	v_mul_f32_e32 v86, v15, v86                                // 000000009BCC: 0AACAD0F
	v_mul_f32_e32 v87, v15, v87                                // 000000009BD0: 0AAEAF0F
	v_mul_f32_dpp v84, v49, v84 row_newbcast:8 row_mask:0xf bank_mask:0xf// 000000009BD4: 0AA8A8FA FF015831
	v_mul_f32_dpp v85, v49, v85 row_newbcast:9 row_mask:0xf bank_mask:0xf// 000000009BDC: 0AAAAAFA FF015931
	v_mul_f32_dpp v86, v49, v86 row_newbcast:10 row_mask:0xf bank_mask:0xf// 000000009BE4: 0AACACFA FF015A31
	v_mul_f32_dpp v87, v49, v87 row_newbcast:11 row_mask:0xf bank_mask:0xf// 000000009BEC: 0AAEAEFA FF015B31
	v_cvt_f32_i32_e32 v88, v88                                 // 000000009BF4: 7EB00B58
	v_cvt_f32_i32_e32 v89, v89                                 // 000000009BF8: 7EB20B59
	v_cvt_f32_i32_e32 v90, v90                                 // 000000009BFC: 7EB40B5A
	v_cvt_f32_i32_e32 v91, v91                                 // 000000009C00: 7EB60B5B
	v_mul_f32_e32 v88, v14, v88                                // 000000009C04: 0AB0B10E
	v_mul_f32_e32 v89, v14, v89                                // 000000009C08: 0AB2B30E
	v_mul_f32_e32 v90, v14, v90                                // 000000009C0C: 0AB4B50E
	v_mul_f32_e32 v91, v14, v91                                // 000000009C10: 0AB6B70E
	v_mul_f32_dpp v88, v49, v88 row_newbcast:12 row_mask:0xf bank_mask:0xf// 000000009C14: 0AB0B0FA FF015C31
	v_mul_f32_dpp v89, v49, v89 row_newbcast:13 row_mask:0xf bank_mask:0xf// 000000009C1C: 0AB2B2FA FF015D31
	v_mul_f32_dpp v90, v49, v90 row_newbcast:14 row_mask:0xf bank_mask:0xf// 000000009C24: 0AB4B4FA FF015E31
	v_mul_f32_dpp v91, v49, v91 row_newbcast:15 row_mask:0xf bank_mask:0xf// 000000009C2C: 0AB6B6FA FF015F31
	v_cvt_f32_i32_e32 v92, v92                                 // 000000009C34: 7EB80B5C
	v_cvt_f32_i32_e32 v93, v93                                 // 000000009C38: 7EBA0B5D
	v_cvt_f32_i32_e32 v94, v94                                 // 000000009C3C: 7EBC0B5E
	v_cvt_f32_i32_e32 v95, v95                                 // 000000009C40: 7EBE0B5F
	v_mul_f32_e32 v92, v15, v92                                // 000000009C44: 0AB8B90F
	v_mul_f32_e32 v93, v15, v93                                // 000000009C48: 0ABABB0F
	v_mul_f32_e32 v94, v15, v94                                // 000000009C4C: 0ABCBD0F
	v_mul_f32_e32 v95, v15, v95                                // 000000009C50: 0ABEBF0F
	v_mul_f32_dpp v92, v49, v92 row_newbcast:12 row_mask:0xf bank_mask:0xf// 000000009C54: 0AB8B8FA FF015C31
	v_mul_f32_dpp v93, v49, v93 row_newbcast:13 row_mask:0xf bank_mask:0xf// 000000009C5C: 0ABABAFA FF015D31
	v_mul_f32_dpp v94, v49, v94 row_newbcast:14 row_mask:0xf bank_mask:0xf// 000000009C64: 0ABCBCFA FF015E31
	v_mul_f32_dpp v95, v49, v95 row_newbcast:15 row_mask:0xf bank_mask:0xf// 000000009C6C: 0ABEBEFA FF015F31
	v_cvt_f32_i32_e32 v96, v96                                 // 000000009C74: 7EC00B60
	v_cvt_f32_i32_e32 v97, v97                                 // 000000009C78: 7EC20B61
	v_cvt_f32_i32_e32 v98, v98                                 // 000000009C7C: 7EC40B62
	v_cvt_f32_i32_e32 v99, v99                                 // 000000009C80: 7EC60B63
	v_mul_f32_e32 v96, v14, v96                                // 000000009C84: 0AC0C10E
	v_mul_f32_e32 v97, v14, v97                                // 000000009C88: 0AC2C30E
	v_mul_f32_e32 v98, v14, v98                                // 000000009C8C: 0AC4C50E
	v_mul_f32_e32 v99, v14, v99                                // 000000009C90: 0AC6C70E
	v_mul_f32_dpp v96, v50, v96 row_newbcast:0 row_mask:0xf bank_mask:0xf// 000000009C94: 0AC0C0FA FF015032
	v_mul_f32_dpp v97, v50, v97 row_newbcast:1 row_mask:0xf bank_mask:0xf// 000000009C9C: 0AC2C2FA FF015132
	v_mul_f32_dpp v98, v50, v98 row_newbcast:2 row_mask:0xf bank_mask:0xf// 000000009CA4: 0AC4C4FA FF015232
	v_mul_f32_dpp v99, v50, v99 row_newbcast:3 row_mask:0xf bank_mask:0xf// 000000009CAC: 0AC6C6FA FF015332
	v_cvt_f32_i32_e32 v100, v100                               // 000000009CB4: 7EC80B64
	v_cvt_f32_i32_e32 v101, v101                               // 000000009CB8: 7ECA0B65
	v_cvt_f32_i32_e32 v102, v102                               // 000000009CBC: 7ECC0B66
	v_cvt_f32_i32_e32 v103, v103                               // 000000009CC0: 7ECE0B67
	v_mul_f32_e32 v100, v15, v100                              // 000000009CC4: 0AC8C90F
	v_mul_f32_e32 v101, v15, v101                              // 000000009CC8: 0ACACB0F
	v_mul_f32_e32 v102, v15, v102                              // 000000009CCC: 0ACCCD0F
	v_mul_f32_e32 v103, v15, v103                              // 000000009CD0: 0ACECF0F
	v_mul_f32_dpp v100, v50, v100 row_newbcast:0 row_mask:0xf bank_mask:0xf// 000000009CD4: 0AC8C8FA FF015032
	v_mul_f32_dpp v101, v50, v101 row_newbcast:1 row_mask:0xf bank_mask:0xf// 000000009CDC: 0ACACAFA FF015132
	v_mul_f32_dpp v102, v50, v102 row_newbcast:2 row_mask:0xf bank_mask:0xf// 000000009CE4: 0ACCCCFA FF015232
	v_mul_f32_dpp v103, v50, v103 row_newbcast:3 row_mask:0xf bank_mask:0xf// 000000009CEC: 0ACECEFA FF015332
	v_cvt_f32_i32_e32 v104, v104                               // 000000009CF4: 7ED00B68
	v_cvt_f32_i32_e32 v105, v105                               // 000000009CF8: 7ED20B69
	v_cvt_f32_i32_e32 v106, v106                               // 000000009CFC: 7ED40B6A
	v_cvt_f32_i32_e32 v107, v107                               // 000000009D00: 7ED60B6B
	v_mul_f32_e32 v104, v14, v104                              // 000000009D04: 0AD0D10E
	v_mul_f32_e32 v105, v14, v105                              // 000000009D08: 0AD2D30E
	v_mul_f32_e32 v106, v14, v106                              // 000000009D0C: 0AD4D50E
	v_mul_f32_e32 v107, v14, v107                              // 000000009D10: 0AD6D70E
	v_mul_f32_dpp v104, v50, v104 row_newbcast:4 row_mask:0xf bank_mask:0xf// 000000009D14: 0AD0D0FA FF015432
	v_mul_f32_dpp v105, v50, v105 row_newbcast:5 row_mask:0xf bank_mask:0xf// 000000009D1C: 0AD2D2FA FF015532
	v_mul_f32_dpp v106, v50, v106 row_newbcast:6 row_mask:0xf bank_mask:0xf// 000000009D24: 0AD4D4FA FF015632
	v_mul_f32_dpp v107, v50, v107 row_newbcast:7 row_mask:0xf bank_mask:0xf// 000000009D2C: 0AD6D6FA FF015732
	v_cvt_f32_i32_e32 v108, v108                               // 000000009D34: 7ED80B6C
	v_cvt_f32_i32_e32 v109, v109                               // 000000009D38: 7EDA0B6D
	v_cvt_f32_i32_e32 v110, v110                               // 000000009D3C: 7EDC0B6E
	v_cvt_f32_i32_e32 v111, v111                               // 000000009D40: 7EDE0B6F
	v_mul_f32_e32 v108, v15, v108                              // 000000009D44: 0AD8D90F
	v_mul_f32_e32 v109, v15, v109                              // 000000009D48: 0ADADB0F
	v_mul_f32_e32 v110, v15, v110                              // 000000009D4C: 0ADCDD0F
	v_mul_f32_e32 v111, v15, v111                              // 000000009D50: 0ADEDF0F
	v_mul_f32_dpp v108, v50, v108 row_newbcast:4 row_mask:0xf bank_mask:0xf// 000000009D54: 0AD8D8FA FF015432
	v_mul_f32_dpp v109, v50, v109 row_newbcast:5 row_mask:0xf bank_mask:0xf// 000000009D5C: 0ADADAFA FF015532
	v_mul_f32_dpp v110, v50, v110 row_newbcast:6 row_mask:0xf bank_mask:0xf// 000000009D64: 0ADCDCFA FF015632
	v_mul_f32_dpp v111, v50, v111 row_newbcast:7 row_mask:0xf bank_mask:0xf// 000000009D6C: 0ADEDEFA FF015732
	v_cvt_f32_i32_e32 v112, v112                               // 000000009D74: 7EE00B70
	v_cvt_f32_i32_e32 v113, v113                               // 000000009D78: 7EE20B71
	v_cvt_f32_i32_e32 v114, v114                               // 000000009D7C: 7EE40B72
	v_cvt_f32_i32_e32 v115, v115                               // 000000009D80: 7EE60B73
	v_mul_f32_e32 v112, v14, v112                              // 000000009D84: 0AE0E10E
	v_mul_f32_e32 v113, v14, v113                              // 000000009D88: 0AE2E30E
	v_mul_f32_e32 v114, v14, v114                              // 000000009D8C: 0AE4E50E
	v_mul_f32_e32 v115, v14, v115                              // 000000009D90: 0AE6E70E
	v_mul_f32_dpp v112, v50, v112 row_newbcast:8 row_mask:0xf bank_mask:0xf// 000000009D94: 0AE0E0FA FF015832
	v_mul_f32_dpp v113, v50, v113 row_newbcast:9 row_mask:0xf bank_mask:0xf// 000000009D9C: 0AE2E2FA FF015932
	v_mul_f32_dpp v114, v50, v114 row_newbcast:10 row_mask:0xf bank_mask:0xf// 000000009DA4: 0AE4E4FA FF015A32
	v_mul_f32_dpp v115, v50, v115 row_newbcast:11 row_mask:0xf bank_mask:0xf// 000000009DAC: 0AE6E6FA FF015B32
	v_cvt_f32_i32_e32 v116, v116                               // 000000009DB4: 7EE80B74
	v_cvt_f32_i32_e32 v117, v117                               // 000000009DB8: 7EEA0B75
	v_cvt_f32_i32_e32 v118, v118                               // 000000009DBC: 7EEC0B76
	v_cvt_f32_i32_e32 v119, v119                               // 000000009DC0: 7EEE0B77
	v_mul_f32_e32 v116, v15, v116                              // 000000009DC4: 0AE8E90F
	v_mul_f32_e32 v117, v15, v117                              // 000000009DC8: 0AEAEB0F
	v_mul_f32_e32 v118, v15, v118                              // 000000009DCC: 0AECED0F
	v_mul_f32_e32 v119, v15, v119                              // 000000009DD0: 0AEEEF0F
	v_mul_f32_dpp v116, v50, v116 row_newbcast:8 row_mask:0xf bank_mask:0xf// 000000009DD4: 0AE8E8FA FF015832
	v_mul_f32_dpp v117, v50, v117 row_newbcast:9 row_mask:0xf bank_mask:0xf// 000000009DDC: 0AEAEAFA FF015932
	v_mul_f32_dpp v118, v50, v118 row_newbcast:10 row_mask:0xf bank_mask:0xf// 000000009DE4: 0AECECFA FF015A32
	v_mul_f32_dpp v119, v50, v119 row_newbcast:11 row_mask:0xf bank_mask:0xf// 000000009DEC: 0AEEEEFA FF015B32
	s_waitcnt vmcnt(24)                                        // 000000009DF4: BF8C4F78
	buffer_load_dwordx4 a[0:3], v41, s[12:15], 0 offen         // 000000009DF8: E05C1000 80830029
	v_mul_f32_e32 v52, v128, v128                              // 000000009E00: 0A690180
	v_mul_f32_e32 v53, v129, v129                              // 000000009E04: 0A6B0381
	v_mul_f32_e32 v54, v130, v130                              // 000000009E08: 0A6D0582
	v_mul_f32_e32 v55, v131, v131                              // 000000009E0C: 0A6F0783
	v_fma_f32 v52, v52, s77, v1                                // 000000009E10: D1CB0034 04049B34
	v_fma_f32 v53, v53, s77, v1                                // 000000009E18: D1CB0035 04049B35
	v_fma_f32 v54, v54, s77, v1                                // 000000009E20: D1CB0036 04049B36
	v_fma_f32 v55, v55, s77, v1                                // 000000009E28: D1CB0037 04049B37
	v_mul_f32_e32 v52, v52, v128                               // 000000009E30: 0A690134
	v_mul_f32_e32 v53, v53, v129                               // 000000009E34: 0A6B0335
	v_mul_f32_e32 v54, v54, v130                               // 000000009E38: 0A6D0536
	v_mul_f32_e32 v55, v55, v131                               // 000000009E3C: 0A6F0737
	v_mul_f32_e64 v52, v52, s6                                 // 000000009E40: D1050034 00000D34
	v_mul_f32_e64 v53, v53, s6                                 // 000000009E48: D1050035 00000D35
	v_mul_f32_e64 v54, v54, s6                                 // 000000009E50: D1050036 00000D36
	v_mul_f32_e64 v55, v55, s6                                 // 000000009E58: D1050037 00000D37
	v_exp_f32_e32 v52, v52                                     // 000000009E60: 7E684134
	v_exp_f32_e32 v53, v53                                     // 000000009E64: 7E6A4135
	v_exp_f32_e32 v54, v54                                     // 000000009E68: 7E6C4136
	v_exp_f32_e32 v55, v55                                     // 000000009E6C: 7E6E4137
	buffer_load_dwordx4 a[4:7], v42, s[12:15], 0 offen         // 000000009E70: E05C1000 8083042A
	v_add_f32_e64 v52, v52, 1.0                                // 000000009E78: D1010034 0001E534
	v_add_f32_e64 v53, v53, 1.0                                // 000000009E80: D1010035 0001E535
	v_add_f32_e64 v54, v54, 1.0                                // 000000009E88: D1010036 0001E536
	v_add_f32_e64 v55, v55, 1.0                                // 000000009E90: D1010037 0001E537
	v_rcp_f32_e32 v52, v52                                     // 000000009E98: 7E684534
	v_rcp_f32_e32 v53, v53                                     // 000000009E9C: 7E6A4535
	v_rcp_f32_e32 v54, v54                                     // 000000009EA0: 7E6C4536
	v_rcp_f32_e32 v55, v55                                     // 000000009EA4: 7E6E4537
	v_mul_f32_e32 v128, v128, v52                              // 000000009EA8: 0B006980
	v_mul_f32_e32 v129, v129, v53                              // 000000009EAC: 0B026B81
	v_mul_f32_e32 v130, v130, v54                              // 000000009EB0: 0B046D82
	v_mul_f32_e32 v131, v131, v55                              // 000000009EB4: 0B066F83
	v_mul_f32_e32 v128, v128, v64                              // 000000009EB8: 0B008180
	v_mul_f32_e32 v129, v129, v65                              // 000000009EBC: 0B028381
	v_mul_f32_e32 v130, v130, v66                              // 000000009EC0: 0B048582
	v_mul_f32_e32 v131, v131, v67                              // 000000009EC4: 0B068783
	buffer_load_dwordx4 a[8:11], v43, s[12:15], 0 offen        // 000000009EC8: E05C1000 8083082B
	v_mul_f32_e32 v52, v132, v132                              // 000000009ED0: 0A690984
	v_mul_f32_e32 v53, v133, v133                              // 000000009ED4: 0A6B0B85
	v_mul_f32_e32 v54, v134, v134                              // 000000009ED8: 0A6D0D86
	v_mul_f32_e32 v55, v135, v135                              // 000000009EDC: 0A6F0F87
	v_fma_f32 v52, v52, s77, v1                                // 000000009EE0: D1CB0034 04049B34
	v_fma_f32 v53, v53, s77, v1                                // 000000009EE8: D1CB0035 04049B35
	v_fma_f32 v54, v54, s77, v1                                // 000000009EF0: D1CB0036 04049B36
	v_fma_f32 v55, v55, s77, v1                                // 000000009EF8: D1CB0037 04049B37
	v_mul_f32_e32 v52, v52, v132                               // 000000009F00: 0A690934
	v_mul_f32_e32 v53, v53, v133                               // 000000009F04: 0A6B0B35
	v_mul_f32_e32 v54, v54, v134                               // 000000009F08: 0A6D0D36
	v_mul_f32_e32 v55, v55, v135                               // 000000009F0C: 0A6F0F37
	v_mul_f32_e64 v52, v52, s6                                 // 000000009F10: D1050034 00000D34
	v_mul_f32_e64 v53, v53, s6                                 // 000000009F18: D1050035 00000D35
	v_mul_f32_e64 v54, v54, s6                                 // 000000009F20: D1050036 00000D36
	v_mul_f32_e64 v55, v55, s6                                 // 000000009F28: D1050037 00000D37
	v_exp_f32_e32 v52, v52                                     // 000000009F30: 7E684134
	v_exp_f32_e32 v53, v53                                     // 000000009F34: 7E6A4135
	v_exp_f32_e32 v54, v54                                     // 000000009F38: 7E6C4136
	v_exp_f32_e32 v55, v55                                     // 000000009F3C: 7E6E4137
	buffer_load_dwordx4 a[12:15], v44, s[12:15], 0 offen       // 000000009F40: E05C1000 80830C2C
	s_add_u32 s12, s78, s12                                    // 000000009F48: 800C0C4E
	s_addc_u32 s13, 0, s13                                     // 000000009F4C: 820D0D80
	v_add_f32_e64 v52, v52, 1.0                                // 000000009F50: D1010034 0001E534
	v_add_f32_e64 v53, v53, 1.0                                // 000000009F58: D1010035 0001E535
	v_add_f32_e64 v54, v54, 1.0                                // 000000009F60: D1010036 0001E536
	v_add_f32_e64 v55, v55, 1.0                                // 000000009F68: D1010037 0001E537
	v_rcp_f32_e32 v52, v52                                     // 000000009F70: 7E684534
	v_rcp_f32_e32 v53, v53                                     // 000000009F74: 7E6A4535
	v_rcp_f32_e32 v54, v54                                     // 000000009F78: 7E6C4536
	v_rcp_f32_e32 v55, v55                                     // 000000009F7C: 7E6E4537
	v_mul_f32_e32 v132, v132, v52                              // 000000009F80: 0B086984
	v_mul_f32_e32 v133, v133, v53                              // 000000009F84: 0B0A6B85
	v_mul_f32_e32 v134, v134, v54                              // 000000009F88: 0B0C6D86
	v_mul_f32_e32 v135, v135, v55                              // 000000009F8C: 0B0E6F87
	v_mul_f32_e32 v132, v132, v68                              // 000000009F90: 0B088984
	v_mul_f32_e32 v133, v133, v69                              // 000000009F94: 0B0A8B85
	v_mul_f32_e32 v134, v134, v70                              // 000000009F98: 0B0C8D86
	v_mul_f32_e32 v135, v135, v71                              // 000000009F9C: 0B0E8F87
	s_waitcnt vmcnt(24)                                        // 000000009FA0: BF8C4F78
	buffer_load_dwordx4 a[16:19], v41, s[12:15], 0 offen       // 000000009FA4: E05C1000 80831029
	v_mul_f32_e32 v52, v136, v136                              // 000000009FAC: 0A691188
	v_mul_f32_e32 v53, v137, v137                              // 000000009FB0: 0A6B1389
	v_mul_f32_e32 v54, v138, v138                              // 000000009FB4: 0A6D158A
	v_mul_f32_e32 v55, v139, v139                              // 000000009FB8: 0A6F178B
	v_fma_f32 v52, v52, s77, v1                                // 000000009FBC: D1CB0034 04049B34
	v_fma_f32 v53, v53, s77, v1                                // 000000009FC4: D1CB0035 04049B35
	v_fma_f32 v54, v54, s77, v1                                // 000000009FCC: D1CB0036 04049B36
	v_fma_f32 v55, v55, s77, v1                                // 000000009FD4: D1CB0037 04049B37
	v_mul_f32_e32 v52, v52, v136                               // 000000009FDC: 0A691134
	v_mul_f32_e32 v53, v53, v137                               // 000000009FE0: 0A6B1335
	v_mul_f32_e32 v54, v54, v138                               // 000000009FE4: 0A6D1536
	v_mul_f32_e32 v55, v55, v139                               // 000000009FE8: 0A6F1737
	v_mul_f32_e64 v52, v52, s6                                 // 000000009FEC: D1050034 00000D34
	v_mul_f32_e64 v53, v53, s6                                 // 000000009FF4: D1050035 00000D35
	v_mul_f32_e64 v54, v54, s6                                 // 000000009FFC: D1050036 00000D36
	v_mul_f32_e64 v55, v55, s6                                 // 00000000A004: D1050037 00000D37
	v_exp_f32_e32 v52, v52                                     // 00000000A00C: 7E684134
	v_exp_f32_e32 v53, v53                                     // 00000000A010: 7E6A4135
	v_exp_f32_e32 v54, v54                                     // 00000000A014: 7E6C4136
	v_exp_f32_e32 v55, v55                                     // 00000000A018: 7E6E4137
	buffer_load_dwordx4 a[20:23], v42, s[12:15], 0 offen       // 00000000A01C: E05C1000 8083142A
	v_add_f32_e64 v52, v52, 1.0                                // 00000000A024: D1010034 0001E534
	v_add_f32_e64 v53, v53, 1.0                                // 00000000A02C: D1010035 0001E535
	v_add_f32_e64 v54, v54, 1.0                                // 00000000A034: D1010036 0001E536
	v_add_f32_e64 v55, v55, 1.0                                // 00000000A03C: D1010037 0001E537
	v_rcp_f32_e32 v52, v52                                     // 00000000A044: 7E684534
	v_rcp_f32_e32 v53, v53                                     // 00000000A048: 7E6A4535
	v_rcp_f32_e32 v54, v54                                     // 00000000A04C: 7E6C4536
	v_rcp_f32_e32 v55, v55                                     // 00000000A050: 7E6E4537
	v_mul_f32_e32 v136, v136, v52                              // 00000000A054: 0B106988
	v_mul_f32_e32 v137, v137, v53                              // 00000000A058: 0B126B89
	v_mul_f32_e32 v138, v138, v54                              // 00000000A05C: 0B146D8A
	v_mul_f32_e32 v139, v139, v55                              // 00000000A060: 0B166F8B
	v_mul_f32_e32 v136, v136, v72                              // 00000000A064: 0B109188
	v_mul_f32_e32 v137, v137, v73                              // 00000000A068: 0B129389
	v_mul_f32_e32 v138, v138, v74                              // 00000000A06C: 0B14958A
	v_mul_f32_e32 v139, v139, v75                              // 00000000A070: 0B16978B
	buffer_load_dwordx4 a[24:27], v43, s[12:15], 0 offen       // 00000000A074: E05C1000 8083182B
	v_mul_f32_e32 v52, v140, v140                              // 00000000A07C: 0A69198C
	v_mul_f32_e32 v53, v141, v141                              // 00000000A080: 0A6B1B8D
	v_mul_f32_e32 v54, v142, v142                              // 00000000A084: 0A6D1D8E
	v_mul_f32_e32 v55, v143, v143                              // 00000000A088: 0A6F1F8F
	v_fma_f32 v52, v52, s77, v1                                // 00000000A08C: D1CB0034 04049B34
	v_fma_f32 v53, v53, s77, v1                                // 00000000A094: D1CB0035 04049B35
	v_fma_f32 v54, v54, s77, v1                                // 00000000A09C: D1CB0036 04049B36
	v_fma_f32 v55, v55, s77, v1                                // 00000000A0A4: D1CB0037 04049B37
	v_mul_f32_e32 v52, v52, v140                               // 00000000A0AC: 0A691934
	v_mul_f32_e32 v53, v53, v141                               // 00000000A0B0: 0A6B1B35
	v_mul_f32_e32 v54, v54, v142                               // 00000000A0B4: 0A6D1D36
	v_mul_f32_e32 v55, v55, v143                               // 00000000A0B8: 0A6F1F37
	v_mul_f32_e64 v52, v52, s6                                 // 00000000A0BC: D1050034 00000D34
	v_mul_f32_e64 v53, v53, s6                                 // 00000000A0C4: D1050035 00000D35
	v_mul_f32_e64 v54, v54, s6                                 // 00000000A0CC: D1050036 00000D36
	v_mul_f32_e64 v55, v55, s6                                 // 00000000A0D4: D1050037 00000D37
	v_exp_f32_e32 v52, v52                                     // 00000000A0DC: 7E684134
	v_exp_f32_e32 v53, v53                                     // 00000000A0E0: 7E6A4135
	v_exp_f32_e32 v54, v54                                     // 00000000A0E4: 7E6C4136
	v_exp_f32_e32 v55, v55                                     // 00000000A0E8: 7E6E4137
	buffer_load_dwordx4 a[28:31], v44, s[12:15], 0 offen       // 00000000A0EC: E05C1000 80831C2C
	s_add_u32 s12, s78, s12                                    // 00000000A0F4: 800C0C4E
	s_addc_u32 s13, 0, s13                                     // 00000000A0F8: 820D0D80
	v_add_f32_e64 v52, v52, 1.0                                // 00000000A0FC: D1010034 0001E534
	v_add_f32_e64 v53, v53, 1.0                                // 00000000A104: D1010035 0001E535
	v_add_f32_e64 v54, v54, 1.0                                // 00000000A10C: D1010036 0001E536
	v_add_f32_e64 v55, v55, 1.0                                // 00000000A114: D1010037 0001E537
	v_rcp_f32_e32 v52, v52                                     // 00000000A11C: 7E684534
	v_rcp_f32_e32 v53, v53                                     // 00000000A120: 7E6A4535
	v_rcp_f32_e32 v54, v54                                     // 00000000A124: 7E6C4536
	v_rcp_f32_e32 v55, v55                                     // 00000000A128: 7E6E4537
	v_mul_f32_e32 v140, v140, v52                              // 00000000A12C: 0B18698C
	v_mul_f32_e32 v141, v141, v53                              // 00000000A130: 0B1A6B8D
	v_mul_f32_e32 v142, v142, v54                              // 00000000A134: 0B1C6D8E
	v_mul_f32_e32 v143, v143, v55                              // 00000000A138: 0B1E6F8F
	v_mul_f32_e32 v140, v140, v76                              // 00000000A13C: 0B18998C
	v_mul_f32_e32 v141, v141, v77                              // 00000000A140: 0B1A9B8D
	v_mul_f32_e32 v142, v142, v78                              // 00000000A144: 0B1C9D8E
	v_mul_f32_e32 v143, v143, v79                              // 00000000A148: 0B1E9F8F
	s_waitcnt vmcnt(24)                                        // 00000000A14C: BF8C4F78
	buffer_load_dwordx4 a[32:35], v41, s[12:15], 0 offen       // 00000000A150: E05C1000 80832029
	v_mul_f32_e32 v52, v144, v144                              // 00000000A158: 0A692190
	v_mul_f32_e32 v53, v145, v145                              // 00000000A15C: 0A6B2391
	v_mul_f32_e32 v54, v146, v146                              // 00000000A160: 0A6D2592
	v_mul_f32_e32 v55, v147, v147                              // 00000000A164: 0A6F2793
	v_fma_f32 v52, v52, s77, v1                                // 00000000A168: D1CB0034 04049B34
	v_fma_f32 v53, v53, s77, v1                                // 00000000A170: D1CB0035 04049B35
	v_fma_f32 v54, v54, s77, v1                                // 00000000A178: D1CB0036 04049B36
	v_fma_f32 v55, v55, s77, v1                                // 00000000A180: D1CB0037 04049B37
	v_mul_f32_e32 v52, v52, v144                               // 00000000A188: 0A692134
	v_mul_f32_e32 v53, v53, v145                               // 00000000A18C: 0A6B2335
	v_mul_f32_e32 v54, v54, v146                               // 00000000A190: 0A6D2536
	v_mul_f32_e32 v55, v55, v147                               // 00000000A194: 0A6F2737
	v_mul_f32_e64 v52, v52, s6                                 // 00000000A198: D1050034 00000D34
	v_mul_f32_e64 v53, v53, s6                                 // 00000000A1A0: D1050035 00000D35
	v_mul_f32_e64 v54, v54, s6                                 // 00000000A1A8: D1050036 00000D36
	v_mul_f32_e64 v55, v55, s6                                 // 00000000A1B0: D1050037 00000D37
	v_exp_f32_e32 v52, v52                                     // 00000000A1B8: 7E684134
	v_exp_f32_e32 v53, v53                                     // 00000000A1BC: 7E6A4135
	v_exp_f32_e32 v54, v54                                     // 00000000A1C0: 7E6C4136
	v_exp_f32_e32 v55, v55                                     // 00000000A1C4: 7E6E4137
	buffer_load_dwordx4 a[36:39], v42, s[12:15], 0 offen       // 00000000A1C8: E05C1000 8083242A
	v_add_f32_e64 v52, v52, 1.0                                // 00000000A1D0: D1010034 0001E534
	v_add_f32_e64 v53, v53, 1.0                                // 00000000A1D8: D1010035 0001E535
	v_add_f32_e64 v54, v54, 1.0                                // 00000000A1E0: D1010036 0001E536
	v_add_f32_e64 v55, v55, 1.0                                // 00000000A1E8: D1010037 0001E537
	v_rcp_f32_e32 v52, v52                                     // 00000000A1F0: 7E684534
	v_rcp_f32_e32 v53, v53                                     // 00000000A1F4: 7E6A4535
	v_rcp_f32_e32 v54, v54                                     // 00000000A1F8: 7E6C4536
	v_rcp_f32_e32 v55, v55                                     // 00000000A1FC: 7E6E4537
	v_mul_f32_e32 v144, v144, v52                              // 00000000A200: 0B206990
	v_mul_f32_e32 v145, v145, v53                              // 00000000A204: 0B226B91
	v_mul_f32_e32 v146, v146, v54                              // 00000000A208: 0B246D92
	v_mul_f32_e32 v147, v147, v55                              // 00000000A20C: 0B266F93
	v_mul_f32_e32 v144, v144, v80                              // 00000000A210: 0B20A190
	v_mul_f32_e32 v145, v145, v81                              // 00000000A214: 0B22A391
	v_mul_f32_e32 v146, v146, v82                              // 00000000A218: 0B24A592
	v_mul_f32_e32 v147, v147, v83                              // 00000000A21C: 0B26A793
	buffer_load_dwordx4 a[40:43], v43, s[12:15], 0 offen       // 00000000A220: E05C1000 8083282B
	v_mul_f32_e32 v52, v148, v148                              // 00000000A228: 0A692994
	v_mul_f32_e32 v53, v149, v149                              // 00000000A22C: 0A6B2B95
	v_mul_f32_e32 v54, v150, v150                              // 00000000A230: 0A6D2D96
	v_mul_f32_e32 v55, v151, v151                              // 00000000A234: 0A6F2F97
	v_fma_f32 v52, v52, s77, v1                                // 00000000A238: D1CB0034 04049B34
	v_fma_f32 v53, v53, s77, v1                                // 00000000A240: D1CB0035 04049B35
	v_fma_f32 v54, v54, s77, v1                                // 00000000A248: D1CB0036 04049B36
	v_fma_f32 v55, v55, s77, v1                                // 00000000A250: D1CB0037 04049B37
	v_mul_f32_e32 v52, v52, v148                               // 00000000A258: 0A692934
	v_mul_f32_e32 v53, v53, v149                               // 00000000A25C: 0A6B2B35
	v_mul_f32_e32 v54, v54, v150                               // 00000000A260: 0A6D2D36
	v_mul_f32_e32 v55, v55, v151                               // 00000000A264: 0A6F2F37
	v_mul_f32_e64 v52, v52, s6                                 // 00000000A268: D1050034 00000D34
	v_mul_f32_e64 v53, v53, s6                                 // 00000000A270: D1050035 00000D35
	v_mul_f32_e64 v54, v54, s6                                 // 00000000A278: D1050036 00000D36
	v_mul_f32_e64 v55, v55, s6                                 // 00000000A280: D1050037 00000D37
	v_exp_f32_e32 v52, v52                                     // 00000000A288: 7E684134
	v_exp_f32_e32 v53, v53                                     // 00000000A28C: 7E6A4135
	v_exp_f32_e32 v54, v54                                     // 00000000A290: 7E6C4136
	v_exp_f32_e32 v55, v55                                     // 00000000A294: 7E6E4137
	buffer_load_dwordx4 a[44:47], v44, s[12:15], 0 offen       // 00000000A298: E05C1000 80832C2C
	s_add_u32 s12, s78, s12                                    // 00000000A2A0: 800C0C4E
	s_addc_u32 s13, 0, s13                                     // 00000000A2A4: 820D0D80
	v_add_f32_e64 v52, v52, 1.0                                // 00000000A2A8: D1010034 0001E534
	v_add_f32_e64 v53, v53, 1.0                                // 00000000A2B0: D1010035 0001E535
	v_add_f32_e64 v54, v54, 1.0                                // 00000000A2B8: D1010036 0001E536
	v_add_f32_e64 v55, v55, 1.0                                // 00000000A2C0: D1010037 0001E537
	v_rcp_f32_e32 v52, v52                                     // 00000000A2C8: 7E684534
	v_rcp_f32_e32 v53, v53                                     // 00000000A2CC: 7E6A4535
	v_rcp_f32_e32 v54, v54                                     // 00000000A2D0: 7E6C4536
	v_rcp_f32_e32 v55, v55                                     // 00000000A2D4: 7E6E4537
	v_mul_f32_e32 v148, v148, v52                              // 00000000A2D8: 0B286994
	v_mul_f32_e32 v149, v149, v53                              // 00000000A2DC: 0B2A6B95
	v_mul_f32_e32 v150, v150, v54                              // 00000000A2E0: 0B2C6D96
	v_mul_f32_e32 v151, v151, v55                              // 00000000A2E4: 0B2E6F97
	v_mul_f32_e32 v148, v148, v84                              // 00000000A2E8: 0B28A994
	v_mul_f32_e32 v149, v149, v85                              // 00000000A2EC: 0B2AAB95
	v_mul_f32_e32 v150, v150, v86                              // 00000000A2F0: 0B2CAD96
	v_mul_f32_e32 v151, v151, v87                              // 00000000A2F4: 0B2EAF97
	s_waitcnt vmcnt(24)                                        // 00000000A2F8: BF8C4F78
	buffer_load_dwordx4 a[48:51], v41, s[12:15], 0 offen       // 00000000A2FC: E05C1000 80833029
	v_mul_f32_e32 v52, v152, v152                              // 00000000A304: 0A693198
	v_mul_f32_e32 v53, v153, v153                              // 00000000A308: 0A6B3399
	v_mul_f32_e32 v54, v154, v154                              // 00000000A30C: 0A6D359A
	v_mul_f32_e32 v55, v155, v155                              // 00000000A310: 0A6F379B
	v_fma_f32 v52, v52, s77, v1                                // 00000000A314: D1CB0034 04049B34
	v_fma_f32 v53, v53, s77, v1                                // 00000000A31C: D1CB0035 04049B35
	v_fma_f32 v54, v54, s77, v1                                // 00000000A324: D1CB0036 04049B36
	v_fma_f32 v55, v55, s77, v1                                // 00000000A32C: D1CB0037 04049B37
	v_mul_f32_e32 v52, v52, v152                               // 00000000A334: 0A693134
	v_mul_f32_e32 v53, v53, v153                               // 00000000A338: 0A6B3335
	v_mul_f32_e32 v54, v54, v154                               // 00000000A33C: 0A6D3536
	v_mul_f32_e32 v55, v55, v155                               // 00000000A340: 0A6F3737
	v_mul_f32_e64 v52, v52, s6                                 // 00000000A344: D1050034 00000D34
	v_mul_f32_e64 v53, v53, s6                                 // 00000000A34C: D1050035 00000D35
	v_mul_f32_e64 v54, v54, s6                                 // 00000000A354: D1050036 00000D36
	v_mul_f32_e64 v55, v55, s6                                 // 00000000A35C: D1050037 00000D37
	v_exp_f32_e32 v52, v52                                     // 00000000A364: 7E684134
	v_exp_f32_e32 v53, v53                                     // 00000000A368: 7E6A4135
	v_exp_f32_e32 v54, v54                                     // 00000000A36C: 7E6C4136
	v_exp_f32_e32 v55, v55                                     // 00000000A370: 7E6E4137
	buffer_load_dwordx4 a[52:55], v42, s[12:15], 0 offen       // 00000000A374: E05C1000 8083342A
	v_add_f32_e64 v52, v52, 1.0                                // 00000000A37C: D1010034 0001E534
	v_add_f32_e64 v53, v53, 1.0                                // 00000000A384: D1010035 0001E535
	v_add_f32_e64 v54, v54, 1.0                                // 00000000A38C: D1010036 0001E536
	v_add_f32_e64 v55, v55, 1.0                                // 00000000A394: D1010037 0001E537
	v_rcp_f32_e32 v52, v52                                     // 00000000A39C: 7E684534
	v_rcp_f32_e32 v53, v53                                     // 00000000A3A0: 7E6A4535
	v_rcp_f32_e32 v54, v54                                     // 00000000A3A4: 7E6C4536
	v_rcp_f32_e32 v55, v55                                     // 00000000A3A8: 7E6E4537
	v_mul_f32_e32 v152, v152, v52                              // 00000000A3AC: 0B306998
	v_mul_f32_e32 v153, v153, v53                              // 00000000A3B0: 0B326B99
	v_mul_f32_e32 v154, v154, v54                              // 00000000A3B4: 0B346D9A
	v_mul_f32_e32 v155, v155, v55                              // 00000000A3B8: 0B366F9B
	v_mul_f32_e32 v152, v152, v88                              // 00000000A3BC: 0B30B198
	v_mul_f32_e32 v153, v153, v89                              // 00000000A3C0: 0B32B399
	v_mul_f32_e32 v154, v154, v90                              // 00000000A3C4: 0B34B59A
	v_mul_f32_e32 v155, v155, v91                              // 00000000A3C8: 0B36B79B
	buffer_load_dwordx4 a[56:59], v43, s[12:15], 0 offen       // 00000000A3CC: E05C1000 8083382B
	v_mul_f32_e32 v52, v156, v156                              // 00000000A3D4: 0A69399C
	v_mul_f32_e32 v53, v157, v157                              // 00000000A3D8: 0A6B3B9D
	v_mul_f32_e32 v54, v158, v158                              // 00000000A3DC: 0A6D3D9E
	v_mul_f32_e32 v55, v159, v159                              // 00000000A3E0: 0A6F3F9F
	v_fma_f32 v52, v52, s77, v1                                // 00000000A3E4: D1CB0034 04049B34
	v_fma_f32 v53, v53, s77, v1                                // 00000000A3EC: D1CB0035 04049B35
	v_fma_f32 v54, v54, s77, v1                                // 00000000A3F4: D1CB0036 04049B36
	v_fma_f32 v55, v55, s77, v1                                // 00000000A3FC: D1CB0037 04049B37
	v_mul_f32_e32 v52, v52, v156                               // 00000000A404: 0A693934
	v_mul_f32_e32 v53, v53, v157                               // 00000000A408: 0A6B3B35
	v_mul_f32_e32 v54, v54, v158                               // 00000000A40C: 0A6D3D36
	v_mul_f32_e32 v55, v55, v159                               // 00000000A410: 0A6F3F37
	v_mul_f32_e64 v52, v52, s6                                 // 00000000A414: D1050034 00000D34
	v_mul_f32_e64 v53, v53, s6                                 // 00000000A41C: D1050035 00000D35
	v_mul_f32_e64 v54, v54, s6                                 // 00000000A424: D1050036 00000D36
	v_mul_f32_e64 v55, v55, s6                                 // 00000000A42C: D1050037 00000D37
	v_exp_f32_e32 v52, v52                                     // 00000000A434: 7E684134
	v_exp_f32_e32 v53, v53                                     // 00000000A438: 7E6A4135
	v_exp_f32_e32 v54, v54                                     // 00000000A43C: 7E6C4136
	v_exp_f32_e32 v55, v55                                     // 00000000A440: 7E6E4137
	buffer_load_dwordx4 a[60:63], v44, s[12:15], 0 offen       // 00000000A444: E05C1000 80833C2C
	s_add_u32 s12, s78, s12                                    // 00000000A44C: 800C0C4E
	s_addc_u32 s13, 0, s13                                     // 00000000A450: 820D0D80
	v_add_f32_e64 v52, v52, 1.0                                // 00000000A454: D1010034 0001E534
	v_add_f32_e64 v53, v53, 1.0                                // 00000000A45C: D1010035 0001E535
	v_add_f32_e64 v54, v54, 1.0                                // 00000000A464: D1010036 0001E536
	v_add_f32_e64 v55, v55, 1.0                                // 00000000A46C: D1010037 0001E537
	v_rcp_f32_e32 v52, v52                                     // 00000000A474: 7E684534
	v_rcp_f32_e32 v53, v53                                     // 00000000A478: 7E6A4535
	v_rcp_f32_e32 v54, v54                                     // 00000000A47C: 7E6C4536
	v_rcp_f32_e32 v55, v55                                     // 00000000A480: 7E6E4537
	v_mul_f32_e32 v156, v156, v52                              // 00000000A484: 0B38699C
	v_mul_f32_e32 v157, v157, v53                              // 00000000A488: 0B3A6B9D
	v_mul_f32_e32 v158, v158, v54                              // 00000000A48C: 0B3C6D9E
	v_mul_f32_e32 v159, v159, v55                              // 00000000A490: 0B3E6F9F
	v_mul_f32_e32 v156, v156, v92                              // 00000000A494: 0B38B99C
	v_mul_f32_e32 v157, v157, v93                              // 00000000A498: 0B3ABB9D
	v_mul_f32_e32 v158, v158, v94                              // 00000000A49C: 0B3CBD9E
	v_mul_f32_e32 v159, v159, v95                              // 00000000A4A0: 0B3EBF9F
	s_waitcnt vmcnt(24)                                        // 00000000A4A4: BF8C4F78
	buffer_load_dwordx4 a[64:67], v41, s[12:15], 0 offen       // 00000000A4A8: E05C1000 80834029
	v_mul_f32_e32 v52, v160, v160                              // 00000000A4B0: 0A6941A0
	v_mul_f32_e32 v53, v161, v161                              // 00000000A4B4: 0A6B43A1
	v_mul_f32_e32 v54, v162, v162                              // 00000000A4B8: 0A6D45A2
	v_mul_f32_e32 v55, v163, v163                              // 00000000A4BC: 0A6F47A3
	v_fma_f32 v52, v52, s77, v1                                // 00000000A4C0: D1CB0034 04049B34
	v_fma_f32 v53, v53, s77, v1                                // 00000000A4C8: D1CB0035 04049B35
	v_fma_f32 v54, v54, s77, v1                                // 00000000A4D0: D1CB0036 04049B36
	v_fma_f32 v55, v55, s77, v1                                // 00000000A4D8: D1CB0037 04049B37
	v_mul_f32_e32 v52, v52, v160                               // 00000000A4E0: 0A694134
	v_mul_f32_e32 v53, v53, v161                               // 00000000A4E4: 0A6B4335
	v_mul_f32_e32 v54, v54, v162                               // 00000000A4E8: 0A6D4536
	v_mul_f32_e32 v55, v55, v163                               // 00000000A4EC: 0A6F4737
	v_mul_f32_e64 v52, v52, s6                                 // 00000000A4F0: D1050034 00000D34
	v_mul_f32_e64 v53, v53, s6                                 // 00000000A4F8: D1050035 00000D35
	v_mul_f32_e64 v54, v54, s6                                 // 00000000A500: D1050036 00000D36
	v_mul_f32_e64 v55, v55, s6                                 // 00000000A508: D1050037 00000D37
	v_exp_f32_e32 v52, v52                                     // 00000000A510: 7E684134
	v_exp_f32_e32 v53, v53                                     // 00000000A514: 7E6A4135
	v_exp_f32_e32 v54, v54                                     // 00000000A518: 7E6C4136
	v_exp_f32_e32 v55, v55                                     // 00000000A51C: 7E6E4137
	buffer_load_dwordx4 a[68:71], v42, s[12:15], 0 offen       // 00000000A520: E05C1000 8083442A
	v_add_f32_e64 v52, v52, 1.0                                // 00000000A528: D1010034 0001E534
	v_add_f32_e64 v53, v53, 1.0                                // 00000000A530: D1010035 0001E535
	v_add_f32_e64 v54, v54, 1.0                                // 00000000A538: D1010036 0001E536
	v_add_f32_e64 v55, v55, 1.0                                // 00000000A540: D1010037 0001E537
	v_rcp_f32_e32 v52, v52                                     // 00000000A548: 7E684534
	v_rcp_f32_e32 v53, v53                                     // 00000000A54C: 7E6A4535
	v_rcp_f32_e32 v54, v54                                     // 00000000A550: 7E6C4536
	v_rcp_f32_e32 v55, v55                                     // 00000000A554: 7E6E4537
	v_mul_f32_e32 v160, v160, v52                              // 00000000A558: 0B4069A0
	v_mul_f32_e32 v161, v161, v53                              // 00000000A55C: 0B426BA1
	v_mul_f32_e32 v162, v162, v54                              // 00000000A560: 0B446DA2
	v_mul_f32_e32 v163, v163, v55                              // 00000000A564: 0B466FA3
	v_mul_f32_e32 v160, v160, v96                              // 00000000A568: 0B40C1A0
	v_mul_f32_e32 v161, v161, v97                              // 00000000A56C: 0B42C3A1
	v_mul_f32_e32 v162, v162, v98                              // 00000000A570: 0B44C5A2
	v_mul_f32_e32 v163, v163, v99                              // 00000000A574: 0B46C7A3
	buffer_load_dwordx4 a[72:75], v43, s[12:15], 0 offen       // 00000000A578: E05C1000 8083482B
	v_mul_f32_e32 v52, v164, v164                              // 00000000A580: 0A6949A4
	v_mul_f32_e32 v53, v165, v165                              // 00000000A584: 0A6B4BA5
	v_mul_f32_e32 v54, v166, v166                              // 00000000A588: 0A6D4DA6
	v_mul_f32_e32 v55, v167, v167                              // 00000000A58C: 0A6F4FA7
	v_fma_f32 v52, v52, s77, v1                                // 00000000A590: D1CB0034 04049B34
	v_fma_f32 v53, v53, s77, v1                                // 00000000A598: D1CB0035 04049B35
	v_fma_f32 v54, v54, s77, v1                                // 00000000A5A0: D1CB0036 04049B36
	v_fma_f32 v55, v55, s77, v1                                // 00000000A5A8: D1CB0037 04049B37
	v_mul_f32_e32 v52, v52, v164                               // 00000000A5B0: 0A694934
	v_mul_f32_e32 v53, v53, v165                               // 00000000A5B4: 0A6B4B35
	v_mul_f32_e32 v54, v54, v166                               // 00000000A5B8: 0A6D4D36
	v_mul_f32_e32 v55, v55, v167                               // 00000000A5BC: 0A6F4F37
	v_mul_f32_e64 v52, v52, s6                                 // 00000000A5C0: D1050034 00000D34
	v_mul_f32_e64 v53, v53, s6                                 // 00000000A5C8: D1050035 00000D35
	v_mul_f32_e64 v54, v54, s6                                 // 00000000A5D0: D1050036 00000D36
	v_mul_f32_e64 v55, v55, s6                                 // 00000000A5D8: D1050037 00000D37
	v_exp_f32_e32 v52, v52                                     // 00000000A5E0: 7E684134
	v_exp_f32_e32 v53, v53                                     // 00000000A5E4: 7E6A4135
	v_exp_f32_e32 v54, v54                                     // 00000000A5E8: 7E6C4136
	v_exp_f32_e32 v55, v55                                     // 00000000A5EC: 7E6E4137
	buffer_load_dwordx4 a[76:79], v44, s[12:15], 0 offen       // 00000000A5F0: E05C1000 80834C2C
	s_add_u32 s12, s78, s12                                    // 00000000A5F8: 800C0C4E
	s_addc_u32 s13, 0, s13                                     // 00000000A5FC: 820D0D80
	v_add_f32_e64 v52, v52, 1.0                                // 00000000A600: D1010034 0001E534
	v_add_f32_e64 v53, v53, 1.0                                // 00000000A608: D1010035 0001E535
	v_add_f32_e64 v54, v54, 1.0                                // 00000000A610: D1010036 0001E536
	v_add_f32_e64 v55, v55, 1.0                                // 00000000A618: D1010037 0001E537
	v_rcp_f32_e32 v52, v52                                     // 00000000A620: 7E684534
	v_rcp_f32_e32 v53, v53                                     // 00000000A624: 7E6A4535
	v_rcp_f32_e32 v54, v54                                     // 00000000A628: 7E6C4536
	v_rcp_f32_e32 v55, v55                                     // 00000000A62C: 7E6E4537
	v_mul_f32_e32 v164, v164, v52                              // 00000000A630: 0B4869A4
	v_mul_f32_e32 v165, v165, v53                              // 00000000A634: 0B4A6BA5
	v_mul_f32_e32 v166, v166, v54                              // 00000000A638: 0B4C6DA6
	v_mul_f32_e32 v167, v167, v55                              // 00000000A63C: 0B4E6FA7
	v_mul_f32_e32 v164, v164, v100                             // 00000000A640: 0B48C9A4
	v_mul_f32_e32 v165, v165, v101                             // 00000000A644: 0B4ACBA5
	v_mul_f32_e32 v166, v166, v102                             // 00000000A648: 0B4CCDA6
	v_mul_f32_e32 v167, v167, v103                             // 00000000A64C: 0B4ECFA7
	s_waitcnt vmcnt(24)                                        // 00000000A650: BF8C4F78
	buffer_load_dwordx4 a[80:83], v41, s[12:15], 0 offen       // 00000000A654: E05C1000 80835029
	v_mul_f32_e32 v52, v168, v168                              // 00000000A65C: 0A6951A8
	v_mul_f32_e32 v53, v169, v169                              // 00000000A660: 0A6B53A9
	v_mul_f32_e32 v54, v170, v170                              // 00000000A664: 0A6D55AA
	v_mul_f32_e32 v55, v171, v171                              // 00000000A668: 0A6F57AB
	v_fma_f32 v52, v52, s77, v1                                // 00000000A66C: D1CB0034 04049B34
	v_fma_f32 v53, v53, s77, v1                                // 00000000A674: D1CB0035 04049B35
	v_fma_f32 v54, v54, s77, v1                                // 00000000A67C: D1CB0036 04049B36
	v_fma_f32 v55, v55, s77, v1                                // 00000000A684: D1CB0037 04049B37
	v_mul_f32_e32 v52, v52, v168                               // 00000000A68C: 0A695134
	v_mul_f32_e32 v53, v53, v169                               // 00000000A690: 0A6B5335
	v_mul_f32_e32 v54, v54, v170                               // 00000000A694: 0A6D5536
	v_mul_f32_e32 v55, v55, v171                               // 00000000A698: 0A6F5737
	v_mul_f32_e64 v52, v52, s6                                 // 00000000A69C: D1050034 00000D34
	v_mul_f32_e64 v53, v53, s6                                 // 00000000A6A4: D1050035 00000D35
	v_mul_f32_e64 v54, v54, s6                                 // 00000000A6AC: D1050036 00000D36
	v_mul_f32_e64 v55, v55, s6                                 // 00000000A6B4: D1050037 00000D37
	v_exp_f32_e32 v52, v52                                     // 00000000A6BC: 7E684134
	v_exp_f32_e32 v53, v53                                     // 00000000A6C0: 7E6A4135
	v_exp_f32_e32 v54, v54                                     // 00000000A6C4: 7E6C4136
	v_exp_f32_e32 v55, v55                                     // 00000000A6C8: 7E6E4137
	buffer_load_dwordx4 a[84:87], v42, s[12:15], 0 offen       // 00000000A6CC: E05C1000 8083542A
	v_add_f32_e64 v52, v52, 1.0                                // 00000000A6D4: D1010034 0001E534
	v_add_f32_e64 v53, v53, 1.0                                // 00000000A6DC: D1010035 0001E535
	v_add_f32_e64 v54, v54, 1.0                                // 00000000A6E4: D1010036 0001E536
	v_add_f32_e64 v55, v55, 1.0                                // 00000000A6EC: D1010037 0001E537
	v_rcp_f32_e32 v52, v52                                     // 00000000A6F4: 7E684534
	v_rcp_f32_e32 v53, v53                                     // 00000000A6F8: 7E6A4535
	v_rcp_f32_e32 v54, v54                                     // 00000000A6FC: 7E6C4536
	v_rcp_f32_e32 v55, v55                                     // 00000000A700: 7E6E4537
	v_mul_f32_e32 v168, v168, v52                              // 00000000A704: 0B5069A8
	v_mul_f32_e32 v169, v169, v53                              // 00000000A708: 0B526BA9
	v_mul_f32_e32 v170, v170, v54                              // 00000000A70C: 0B546DAA
	v_mul_f32_e32 v171, v171, v55                              // 00000000A710: 0B566FAB
	v_mul_f32_e32 v168, v168, v104                             // 00000000A714: 0B50D1A8
	v_mul_f32_e32 v169, v169, v105                             // 00000000A718: 0B52D3A9
	v_mul_f32_e32 v170, v170, v106                             // 00000000A71C: 0B54D5AA
	v_mul_f32_e32 v171, v171, v107                             // 00000000A720: 0B56D7AB
	buffer_load_dwordx4 a[88:91], v43, s[12:15], 0 offen       // 00000000A724: E05C1000 8083582B
	v_mul_f32_e32 v52, v172, v172                              // 00000000A72C: 0A6959AC
	v_mul_f32_e32 v53, v173, v173                              // 00000000A730: 0A6B5BAD
	v_mul_f32_e32 v54, v174, v174                              // 00000000A734: 0A6D5DAE
	v_mul_f32_e32 v55, v175, v175                              // 00000000A738: 0A6F5FAF
	v_fma_f32 v52, v52, s77, v1                                // 00000000A73C: D1CB0034 04049B34
	v_fma_f32 v53, v53, s77, v1                                // 00000000A744: D1CB0035 04049B35
	v_fma_f32 v54, v54, s77, v1                                // 00000000A74C: D1CB0036 04049B36
	v_fma_f32 v55, v55, s77, v1                                // 00000000A754: D1CB0037 04049B37
	v_mul_f32_e32 v52, v52, v172                               // 00000000A75C: 0A695934
	v_mul_f32_e32 v53, v53, v173                               // 00000000A760: 0A6B5B35
	v_mul_f32_e32 v54, v54, v174                               // 00000000A764: 0A6D5D36
	v_mul_f32_e32 v55, v55, v175                               // 00000000A768: 0A6F5F37
	v_mul_f32_e64 v52, v52, s6                                 // 00000000A76C: D1050034 00000D34
	v_mul_f32_e64 v53, v53, s6                                 // 00000000A774: D1050035 00000D35
	v_mul_f32_e64 v54, v54, s6                                 // 00000000A77C: D1050036 00000D36
	v_mul_f32_e64 v55, v55, s6                                 // 00000000A784: D1050037 00000D37
	v_exp_f32_e32 v52, v52                                     // 00000000A78C: 7E684134
	v_exp_f32_e32 v53, v53                                     // 00000000A790: 7E6A4135
	v_exp_f32_e32 v54, v54                                     // 00000000A794: 7E6C4136
	v_exp_f32_e32 v55, v55                                     // 00000000A798: 7E6E4137
	buffer_load_dwordx4 a[92:95], v44, s[12:15], 0 offen       // 00000000A79C: E05C1000 80835C2C
	s_add_u32 s12, s78, s12                                    // 00000000A7A4: 800C0C4E
	s_addc_u32 s13, 0, s13                                     // 00000000A7A8: 820D0D80
	v_add_f32_e64 v52, v52, 1.0                                // 00000000A7AC: D1010034 0001E534
	v_add_f32_e64 v53, v53, 1.0                                // 00000000A7B4: D1010035 0001E535
	v_add_f32_e64 v54, v54, 1.0                                // 00000000A7BC: D1010036 0001E536
	v_add_f32_e64 v55, v55, 1.0                                // 00000000A7C4: D1010037 0001E537
	v_rcp_f32_e32 v52, v52                                     // 00000000A7CC: 7E684534
	v_rcp_f32_e32 v53, v53                                     // 00000000A7D0: 7E6A4535
	v_rcp_f32_e32 v54, v54                                     // 00000000A7D4: 7E6C4536
	v_rcp_f32_e32 v55, v55                                     // 00000000A7D8: 7E6E4537
	v_mul_f32_e32 v172, v172, v52                              // 00000000A7DC: 0B5869AC
	v_mul_f32_e32 v173, v173, v53                              // 00000000A7E0: 0B5A6BAD
	v_mul_f32_e32 v174, v174, v54                              // 00000000A7E4: 0B5C6DAE
	v_mul_f32_e32 v175, v175, v55                              // 00000000A7E8: 0B5E6FAF
	v_mul_f32_e32 v172, v172, v108                             // 00000000A7EC: 0B58D9AC
	v_mul_f32_e32 v173, v173, v109                             // 00000000A7F0: 0B5ADBAD
	v_mul_f32_e32 v174, v174, v110                             // 00000000A7F4: 0B5CDDAE
	v_mul_f32_e32 v175, v175, v111                             // 00000000A7F8: 0B5EDFAF
	s_waitcnt vmcnt(24)                                        // 00000000A7FC: BF8C4F78
	buffer_load_dwordx4 a[96:99], v41, s[12:15], 0 offen       // 00000000A800: E05C1000 80836029
	v_mul_f32_e32 v52, v176, v176                              // 00000000A808: 0A6961B0
	v_mul_f32_e32 v53, v177, v177                              // 00000000A80C: 0A6B63B1
	v_mul_f32_e32 v54, v178, v178                              // 00000000A810: 0A6D65B2
	v_mul_f32_e32 v55, v179, v179                              // 00000000A814: 0A6F67B3
	v_fma_f32 v52, v52, s77, v1                                // 00000000A818: D1CB0034 04049B34
	v_fma_f32 v53, v53, s77, v1                                // 00000000A820: D1CB0035 04049B35
	v_fma_f32 v54, v54, s77, v1                                // 00000000A828: D1CB0036 04049B36
	v_fma_f32 v55, v55, s77, v1                                // 00000000A830: D1CB0037 04049B37
	v_mul_f32_e32 v52, v52, v176                               // 00000000A838: 0A696134
	v_mul_f32_e32 v53, v53, v177                               // 00000000A83C: 0A6B6335
	v_mul_f32_e32 v54, v54, v178                               // 00000000A840: 0A6D6536
	v_mul_f32_e32 v55, v55, v179                               // 00000000A844: 0A6F6737
	v_mul_f32_e64 v52, v52, s6                                 // 00000000A848: D1050034 00000D34
	v_mul_f32_e64 v53, v53, s6                                 // 00000000A850: D1050035 00000D35
	v_mul_f32_e64 v54, v54, s6                                 // 00000000A858: D1050036 00000D36
	v_mul_f32_e64 v55, v55, s6                                 // 00000000A860: D1050037 00000D37
	v_exp_f32_e32 v52, v52                                     // 00000000A868: 7E684134
	v_exp_f32_e32 v53, v53                                     // 00000000A86C: 7E6A4135
	v_exp_f32_e32 v54, v54                                     // 00000000A870: 7E6C4136
	v_exp_f32_e32 v55, v55                                     // 00000000A874: 7E6E4137
	buffer_load_dwordx4 a[100:103], v42, s[12:15], 0 offen     // 00000000A878: E05C1000 8083642A
	v_add_f32_e64 v52, v52, 1.0                                // 00000000A880: D1010034 0001E534
	v_add_f32_e64 v53, v53, 1.0                                // 00000000A888: D1010035 0001E535
	v_add_f32_e64 v54, v54, 1.0                                // 00000000A890: D1010036 0001E536
	v_add_f32_e64 v55, v55, 1.0                                // 00000000A898: D1010037 0001E537
	v_rcp_f32_e32 v52, v52                                     // 00000000A8A0: 7E684534
	v_rcp_f32_e32 v53, v53                                     // 00000000A8A4: 7E6A4535
	v_rcp_f32_e32 v54, v54                                     // 00000000A8A8: 7E6C4536
	v_rcp_f32_e32 v55, v55                                     // 00000000A8AC: 7E6E4537
	v_mul_f32_e32 v176, v176, v52                              // 00000000A8B0: 0B6069B0
	v_mul_f32_e32 v177, v177, v53                              // 00000000A8B4: 0B626BB1
	v_mul_f32_e32 v178, v178, v54                              // 00000000A8B8: 0B646DB2
	v_mul_f32_e32 v179, v179, v55                              // 00000000A8BC: 0B666FB3
	v_mul_f32_e32 v176, v176, v112                             // 00000000A8C0: 0B60E1B0
	v_mul_f32_e32 v177, v177, v113                             // 00000000A8C4: 0B62E3B1
	v_mul_f32_e32 v178, v178, v114                             // 00000000A8C8: 0B64E5B2
	v_mul_f32_e32 v179, v179, v115                             // 00000000A8CC: 0B66E7B3
	buffer_load_dwordx4 a[104:107], v43, s[12:15], 0 offen     // 00000000A8D0: E05C1000 8083682B
	v_mul_f32_e32 v52, v180, v180                              // 00000000A8D8: 0A6969B4
	v_mul_f32_e32 v53, v181, v181                              // 00000000A8DC: 0A6B6BB5
	v_mul_f32_e32 v54, v182, v182                              // 00000000A8E0: 0A6D6DB6
	v_mul_f32_e32 v55, v183, v183                              // 00000000A8E4: 0A6F6FB7
	v_fma_f32 v52, v52, s77, v1                                // 00000000A8E8: D1CB0034 04049B34
	v_fma_f32 v53, v53, s77, v1                                // 00000000A8F0: D1CB0035 04049B35
	v_fma_f32 v54, v54, s77, v1                                // 00000000A8F8: D1CB0036 04049B36
	v_fma_f32 v55, v55, s77, v1                                // 00000000A900: D1CB0037 04049B37
	v_mul_f32_e32 v52, v52, v180                               // 00000000A908: 0A696934
	v_mul_f32_e32 v53, v53, v181                               // 00000000A90C: 0A6B6B35
	v_mul_f32_e32 v54, v54, v182                               // 00000000A910: 0A6D6D36
	v_mul_f32_e32 v55, v55, v183                               // 00000000A914: 0A6F6F37
	v_mul_f32_e64 v52, v52, s6                                 // 00000000A918: D1050034 00000D34
	v_mul_f32_e64 v53, v53, s6                                 // 00000000A920: D1050035 00000D35
	v_mul_f32_e64 v54, v54, s6                                 // 00000000A928: D1050036 00000D36
	v_mul_f32_e64 v55, v55, s6                                 // 00000000A930: D1050037 00000D37
	v_exp_f32_e32 v52, v52                                     // 00000000A938: 7E684134
	v_exp_f32_e32 v53, v53                                     // 00000000A93C: 7E6A4135
	v_exp_f32_e32 v54, v54                                     // 00000000A940: 7E6C4136
	v_exp_f32_e32 v55, v55                                     // 00000000A944: 7E6E4137
	buffer_load_dwordx4 a[108:111], v44, s[12:15], 0 offen     // 00000000A948: E05C1000 80836C2C
	v_add_f32_e64 v52, v52, 1.0                                // 00000000A950: D1010034 0001E534
	v_add_f32_e64 v53, v53, 1.0                                // 00000000A958: D1010035 0001E535
	v_add_f32_e64 v54, v54, 1.0                                // 00000000A960: D1010036 0001E536
	v_add_f32_e64 v55, v55, 1.0                                // 00000000A968: D1010037 0001E537
	v_rcp_f32_e32 v52, v52                                     // 00000000A970: 7E684534
	v_rcp_f32_e32 v53, v53                                     // 00000000A974: 7E6A4535
	v_rcp_f32_e32 v54, v54                                     // 00000000A978: 7E6C4536
	v_rcp_f32_e32 v55, v55                                     // 00000000A97C: 7E6E4537
	v_mul_f32_e32 v180, v180, v52                              // 00000000A980: 0B6869B4
	v_mul_f32_e32 v181, v181, v53                              // 00000000A984: 0B6A6BB5
	v_mul_f32_e32 v182, v182, v54                              // 00000000A988: 0B6C6DB6
	v_mul_f32_e32 v183, v183, v55                              // 00000000A98C: 0B6E6FB7
	v_mul_f32_e32 v180, v180, v116                             // 00000000A990: 0B68E9B4
	v_mul_f32_e32 v181, v181, v117                             // 00000000A994: 0B6AEBB5
	v_mul_f32_e32 v182, v182, v118                             // 00000000A998: 0B6CEDB6
	v_mul_f32_e32 v183, v183, v119                             // 00000000A99C: 0B6EEFB7
	v_mul_f32_dpp v128, v18, v128 row_newbcast:0 row_mask:0xf bank_mask:0xf// 00000000A9A0: 0B0100FA FF015012
	v_mul_f32_dpp v129, v18, v129 row_newbcast:1 row_mask:0xf bank_mask:0xf// 00000000A9A8: 0B0302FA FF015112
	v_mul_f32_dpp v130, v18, v130 row_newbcast:2 row_mask:0xf bank_mask:0xf// 00000000A9B0: 0B0504FA FF015212
	v_mul_f32_dpp v131, v18, v131 row_newbcast:3 row_mask:0xf bank_mask:0xf// 00000000A9B8: 0B0706FA FF015312
	v_mul_f32_dpp v132, v18, v132 row_newbcast:0 row_mask:0xf bank_mask:0xf// 00000000A9C0: 0B0908FA FF015012
	v_mul_f32_dpp v133, v18, v133 row_newbcast:1 row_mask:0xf bank_mask:0xf// 00000000A9C8: 0B0B0AFA FF015112
	v_mul_f32_dpp v134, v18, v134 row_newbcast:2 row_mask:0xf bank_mask:0xf// 00000000A9D0: 0B0D0CFA FF015212
	v_mul_f32_dpp v135, v18, v135 row_newbcast:3 row_mask:0xf bank_mask:0xf// 00000000A9D8: 0B0F0EFA FF015312
	v_mul_f32_dpp v136, v18, v136 row_newbcast:4 row_mask:0xf bank_mask:0xf// 00000000A9E0: 0B1110FA FF015412
	v_mul_f32_dpp v137, v18, v137 row_newbcast:5 row_mask:0xf bank_mask:0xf// 00000000A9E8: 0B1312FA FF015512
	v_mul_f32_dpp v138, v18, v138 row_newbcast:6 row_mask:0xf bank_mask:0xf// 00000000A9F0: 0B1514FA FF015612
	v_mul_f32_dpp v139, v18, v139 row_newbcast:7 row_mask:0xf bank_mask:0xf// 00000000A9F8: 0B1716FA FF015712
	v_mul_f32_dpp v140, v18, v140 row_newbcast:4 row_mask:0xf bank_mask:0xf// 00000000AA00: 0B1918FA FF015412
	v_mul_f32_dpp v141, v18, v141 row_newbcast:5 row_mask:0xf bank_mask:0xf// 00000000AA08: 0B1B1AFA FF015512
	v_mul_f32_dpp v142, v18, v142 row_newbcast:6 row_mask:0xf bank_mask:0xf// 00000000AA10: 0B1D1CFA FF015612
	v_mul_f32_dpp v143, v18, v143 row_newbcast:7 row_mask:0xf bank_mask:0xf// 00000000AA18: 0B1F1EFA FF015712
	v_mul_f32_dpp v144, v18, v144 row_newbcast:8 row_mask:0xf bank_mask:0xf// 00000000AA20: 0B2120FA FF015812
	v_mul_f32_dpp v145, v18, v145 row_newbcast:9 row_mask:0xf bank_mask:0xf// 00000000AA28: 0B2322FA FF015912
	v_mul_f32_dpp v146, v18, v146 row_newbcast:10 row_mask:0xf bank_mask:0xf// 00000000AA30: 0B2524FA FF015A12
	v_mul_f32_dpp v147, v18, v147 row_newbcast:11 row_mask:0xf bank_mask:0xf// 00000000AA38: 0B2726FA FF015B12
	v_mul_f32_dpp v148, v18, v148 row_newbcast:8 row_mask:0xf bank_mask:0xf// 00000000AA40: 0B2928FA FF015812
	v_mul_f32_dpp v149, v18, v149 row_newbcast:9 row_mask:0xf bank_mask:0xf// 00000000AA48: 0B2B2AFA FF015912
	v_mul_f32_dpp v150, v18, v150 row_newbcast:10 row_mask:0xf bank_mask:0xf// 00000000AA50: 0B2D2CFA FF015A12
	v_mul_f32_dpp v151, v18, v151 row_newbcast:11 row_mask:0xf bank_mask:0xf// 00000000AA58: 0B2F2EFA FF015B12
	v_mul_f32_dpp v152, v18, v152 row_newbcast:12 row_mask:0xf bank_mask:0xf// 00000000AA60: 0B3130FA FF015C12
	v_mul_f32_dpp v153, v18, v153 row_newbcast:13 row_mask:0xf bank_mask:0xf// 00000000AA68: 0B3332FA FF015D12
	v_mul_f32_dpp v154, v18, v154 row_newbcast:14 row_mask:0xf bank_mask:0xf// 00000000AA70: 0B3534FA FF015E12
	v_mul_f32_dpp v155, v18, v155 row_newbcast:15 row_mask:0xf bank_mask:0xf// 00000000AA78: 0B3736FA FF015F12
	v_mul_f32_dpp v156, v18, v156 row_newbcast:12 row_mask:0xf bank_mask:0xf// 00000000AA80: 0B3938FA FF015C12
	v_mul_f32_dpp v157, v18, v157 row_newbcast:13 row_mask:0xf bank_mask:0xf// 00000000AA88: 0B3B3AFA FF015D12
	v_mul_f32_dpp v158, v18, v158 row_newbcast:14 row_mask:0xf bank_mask:0xf// 00000000AA90: 0B3D3CFA FF015E12
	v_mul_f32_dpp v159, v18, v159 row_newbcast:15 row_mask:0xf bank_mask:0xf// 00000000AA98: 0B3F3EFA FF015F12
	v_mul_f32_dpp v160, v19, v160 row_newbcast:0 row_mask:0xf bank_mask:0xf// 00000000AAA0: 0B4140FA FF015013
	v_mul_f32_dpp v161, v19, v161 row_newbcast:1 row_mask:0xf bank_mask:0xf// 00000000AAA8: 0B4342FA FF015113
	v_mul_f32_dpp v162, v19, v162 row_newbcast:2 row_mask:0xf bank_mask:0xf// 00000000AAB0: 0B4544FA FF015213
	v_mul_f32_dpp v163, v19, v163 row_newbcast:3 row_mask:0xf bank_mask:0xf// 00000000AAB8: 0B4746FA FF015313
	v_mul_f32_dpp v164, v19, v164 row_newbcast:0 row_mask:0xf bank_mask:0xf// 00000000AAC0: 0B4948FA FF015013
	v_mul_f32_dpp v165, v19, v165 row_newbcast:1 row_mask:0xf bank_mask:0xf// 00000000AAC8: 0B4B4AFA FF015113
	v_mul_f32_dpp v166, v19, v166 row_newbcast:2 row_mask:0xf bank_mask:0xf// 00000000AAD0: 0B4D4CFA FF015213
	v_mul_f32_dpp v167, v19, v167 row_newbcast:3 row_mask:0xf bank_mask:0xf// 00000000AAD8: 0B4F4EFA FF015313
	v_mul_f32_dpp v168, v19, v168 row_newbcast:4 row_mask:0xf bank_mask:0xf// 00000000AAE0: 0B5150FA FF015413
	v_mul_f32_dpp v169, v19, v169 row_newbcast:5 row_mask:0xf bank_mask:0xf// 00000000AAE8: 0B5352FA FF015513
	v_mul_f32_dpp v170, v19, v170 row_newbcast:6 row_mask:0xf bank_mask:0xf// 00000000AAF0: 0B5554FA FF015613
	v_mul_f32_dpp v171, v19, v171 row_newbcast:7 row_mask:0xf bank_mask:0xf// 00000000AAF8: 0B5756FA FF015713
	v_mul_f32_dpp v172, v19, v172 row_newbcast:4 row_mask:0xf bank_mask:0xf// 00000000AB00: 0B5958FA FF015413
	v_mul_f32_dpp v173, v19, v173 row_newbcast:5 row_mask:0xf bank_mask:0xf// 00000000AB08: 0B5B5AFA FF015513
	v_mul_f32_dpp v174, v19, v174 row_newbcast:6 row_mask:0xf bank_mask:0xf// 00000000AB10: 0B5D5CFA FF015613
	v_mul_f32_dpp v175, v19, v175 row_newbcast:7 row_mask:0xf bank_mask:0xf// 00000000AB18: 0B5F5EFA FF015713
	v_mul_f32_dpp v176, v19, v176 row_newbcast:8 row_mask:0xf bank_mask:0xf// 00000000AB20: 0B6160FA FF015813
	v_mul_f32_dpp v177, v19, v177 row_newbcast:9 row_mask:0xf bank_mask:0xf// 00000000AB28: 0B6362FA FF015913
	v_mul_f32_dpp v178, v19, v178 row_newbcast:10 row_mask:0xf bank_mask:0xf// 00000000AB30: 0B6564FA FF015A13
	v_mul_f32_dpp v179, v19, v179 row_newbcast:11 row_mask:0xf bank_mask:0xf// 00000000AB38: 0B6766FA FF015B13
	v_mul_f32_dpp v180, v19, v180 row_newbcast:8 row_mask:0xf bank_mask:0xf// 00000000AB40: 0B6968FA FF015813
	v_mul_f32_dpp v181, v19, v181 row_newbcast:9 row_mask:0xf bank_mask:0xf// 00000000AB48: 0B6B6AFA FF015913
	v_mul_f32_dpp v182, v19, v182 row_newbcast:10 row_mask:0xf bank_mask:0xf// 00000000AB50: 0B6D6CFA FF015A13
	v_mul_f32_dpp v183, v19, v183 row_newbcast:11 row_mask:0xf bank_mask:0xf// 00000000AB58: 0B6F6EFA FF015B13
	v_lshlrev_b32_e32 v52, 2, v0                               // 00000000AB60: 24680082
	s_mul_i32 s60, s82, s71                                    // 00000000AB64: 923C4752
	v_add_u32_e64 v80, v52, s60                                // 00000000AB68: D1340050 00007934
	v_mov_b32_e32 v81, 0                                       // 00000000AB70: 7EA20280
	s_mul_i32 s60, s83, s71                                    // 00000000AB74: 923C4753
	v_add_u32_e64 v82, v52, s60                                // 00000000AB78: D1340052 00007934
	v_mov_b32_e32 v83, 0                                       // 00000000AB80: 7EA60280
	s_mul_i32 s60, s84, s71                                    // 00000000AB84: 923C4754
	v_add_u32_e64 v84, v52, s60                                // 00000000AB88: D1340054 00007934
	v_mov_b32_e32 v85, 0                                       // 00000000AB90: 7EAA0280
	s_mul_i32 s60, s85, s71                                    // 00000000AB94: 923C4755
	v_add_u32_e64 v86, v52, s60                                // 00000000AB98: D1340056 00007934
	v_mov_b32_e32 v87, 0                                       // 00000000ABA0: 7EAE0280
	s_mul_i32 s60, s86, s71                                    // 00000000ABA4: 923C4756
	v_add_u32_e64 v88, v52, s60                                // 00000000ABA8: D1340058 00007934
	v_mov_b32_e32 v89, 0                                       // 00000000ABB0: 7EB20280
	s_mul_i32 s60, s87, s71                                    // 00000000ABB4: 923C4757
	v_add_u32_e64 v90, v52, s60                                // 00000000ABB8: D134005A 00007934
	v_mov_b32_e32 v91, 0                                       // 00000000ABC0: 7EB60280
	s_mul_i32 s60, s88, s71                                    // 00000000ABC4: 923C4758
	v_add_u32_e64 v92, v52, s60                                // 00000000ABC8: D134005C 00007934
	v_mov_b32_e32 v93, 0                                       // 00000000ABD0: 7EBA0280
	s_mul_i32 s60, s89, s71                                    // 00000000ABD4: 923C4759
	v_add_u32_e64 v94, v52, s60                                // 00000000ABD8: D134005E 00007934
	v_mov_b32_e32 v95, 0                                       // 00000000ABE0: 7EBE0280
	buffer_load_dword v12, v5, s[16:19], 0 offen               // 00000000ABE4: E0501000 80040C05
	v_mov_b32_e32 v22, 0x358637bd                              // 00000000ABEC: 7E2C02FF 358637BD
	v_mov_b32_e32 v23, 0x358637bd                              // 00000000ABF4: 7E2E02FF 358637BD
	v_max3_f32 v22, |v128|, |v129|, v22                        // 00000000ABFC: D1D30316 045B0380
	v_max3_f32 v22, |v130|, |v131|, v22                        // 00000000AC04: D1D30316 045B0782
	v_max3_f32 v23, |v132|, |v133|, v23                        // 00000000AC0C: D1D30317 045F0B84
	v_max3_f32 v23, |v134|, |v135|, v23                        // 00000000AC14: D1D30317 045F0F86
	v_max3_f32 v22, |v136|, |v137|, v22                        // 00000000AC1C: D1D30316 045B1388
	v_max3_f32 v22, |v138|, |v139|, v22                        // 00000000AC24: D1D30316 045B178A
	v_max3_f32 v23, |v140|, |v141|, v23                        // 00000000AC2C: D1D30317 045F1B8C
	v_max3_f32 v23, |v142|, |v143|, v23                        // 00000000AC34: D1D30317 045F1F8E
	v_max3_f32 v22, |v144|, |v145|, v22                        // 00000000AC3C: D1D30316 045B2390
	v_max3_f32 v22, |v146|, |v147|, v22                        // 00000000AC44: D1D30316 045B2792
	v_max3_f32 v23, |v148|, |v149|, v23                        // 00000000AC4C: D1D30317 045F2B94
	v_max3_f32 v23, |v150|, |v151|, v23                        // 00000000AC54: D1D30317 045F2F96
	v_max3_f32 v22, |v152|, |v153|, v22                        // 00000000AC5C: D1D30316 045B3398
	v_max3_f32 v22, |v154|, |v155|, v22                        // 00000000AC64: D1D30316 045B379A
	v_max3_f32 v23, |v156|, |v157|, v23                        // 00000000AC6C: D1D30317 045F3B9C
	v_max3_f32 v23, |v158|, |v159|, v23                        // 00000000AC74: D1D30317 045F3F9E
	v_max3_f32 v22, |v160|, |v161|, v22                        // 00000000AC7C: D1D30316 045B43A0
	v_max3_f32 v22, |v162|, |v163|, v22                        // 00000000AC84: D1D30316 045B47A2
	v_max3_f32 v23, |v164|, |v165|, v23                        // 00000000AC8C: D1D30317 045F4BA4
	v_max3_f32 v23, |v166|, |v167|, v23                        // 00000000AC94: D1D30317 045F4FA6
	v_max3_f32 v22, |v168|, |v169|, v22                        // 00000000AC9C: D1D30316 045B53A8
	v_max3_f32 v22, |v170|, |v171|, v22                        // 00000000ACA4: D1D30316 045B57AA
	v_max3_f32 v23, |v172|, |v173|, v23                        // 00000000ACAC: D1D30317 045F5BAC
	v_max3_f32 v23, |v174|, |v175|, v23                        // 00000000ACB4: D1D30317 045F5FAE
	v_max3_f32 v22, |v176|, |v177|, v22                        // 00000000ACBC: D1D30316 045B63B0
	v_max3_f32 v22, |v178|, |v179|, v22                        // 00000000ACC4: D1D30316 045B67B2
	v_max3_f32 v23, |v180|, |v181|, v23                        // 00000000ACCC: D1D30317 045F6BB4
	v_max3_f32 v23, |v182|, |v183|, v23                        // 00000000ACD4: D1D30317 045F6FB6
	v_lshlrev_b32_e32 v52, 3, v0                               // 00000000ACDC: 24680083
	s_mul_i32 s60, 0x200, s7                                   // 00000000ACE0: 923C07FF 00000200
	v_add_u32_e32 v52, s60, v52                                // 00000000ACE8: 6868683C
	ds_write_b64 v52, v[22:23] offset:16640                    // 00000000ACEC: D89A4100 00001634
	s_waitcnt lgkmcnt(0)                                       // 00000000ACF4: BF8CC07F
	s_barrier                                                  // 00000000ACF8: BF8A0000
	v_and_b32_e32 v52, 15, v0                                  // 00000000ACFC: 2668008F
	v_lshlrev_b32_e32 v52, 3, v52                              // 00000000AD00: 24686883
	ds_read_b64 v[96:97], v52 offset:16640                     // 00000000AD04: D8EC4100 60000034
	ds_read_b64 v[98:99], v52 offset:16768                     // 00000000AD0C: D8EC4180 62000034
	ds_read_b64 v[100:101], v52 offset:16896                   // 00000000AD14: D8EC4200 64000034
	ds_read_b64 v[102:103], v52 offset:17024                   // 00000000AD1C: D8EC4280 66000034
	ds_read_b64 v[104:105], v52 offset:17152                   // 00000000AD24: D8EC4300 68000034
	ds_read_b64 v[106:107], v52 offset:17280                   // 00000000AD2C: D8EC4380 6A000034
	ds_read_b64 v[108:109], v52 offset:17408                   // 00000000AD34: D8EC4400 6C000034
	ds_read_b64 v[110:111], v52 offset:17536                   // 00000000AD3C: D8EC4480 6E000034
	ds_read_b64 v[112:113], v52 offset:17664                   // 00000000AD44: D8EC4500 70000034
	ds_read_b64 v[114:115], v52 offset:17792                   // 00000000AD4C: D8EC4580 72000034
	ds_read_b64 v[116:117], v52 offset:17920                   // 00000000AD54: D8EC4600 74000034
	ds_read_b64 v[118:119], v52 offset:18048                   // 00000000AD5C: D8EC4680 76000034
	ds_read_b64 v[120:121], v52 offset:18176                   // 00000000AD64: D8EC4700 78000034
	ds_read_b64 v[122:123], v52 offset:18304                   // 00000000AD6C: D8EC4780 7A000034
	ds_read_b64 v[124:125], v52 offset:18432                   // 00000000AD74: D8EC4800 7C000034
	ds_read_b64 v[126:127], v52 offset:18560                   // 00000000AD7C: D8EC4880 7E000034
	s_waitcnt lgkmcnt(0)                                       // 00000000AD84: BF8CC07F
	v_max3_f32 v22, |v96|, |v98|, v22                          // 00000000AD88: D1D30316 045AC560
	v_max3_f32 v23, |v97|, |v99|, v23                          // 00000000AD90: D1D30317 045EC761
	v_max3_f32 v22, |v100|, |v102|, v22                        // 00000000AD98: D1D30316 045ACD64
	v_max3_f32 v23, |v101|, |v103|, v23                        // 00000000ADA0: D1D30317 045ECF65
	v_max3_f32 v22, |v104|, |v106|, v22                        // 00000000ADA8: D1D30316 045AD568
	v_max3_f32 v23, |v105|, |v107|, v23                        // 00000000ADB0: D1D30317 045ED769
	v_max3_f32 v22, |v108|, |v110|, v22                        // 00000000ADB8: D1D30316 045ADD6C
	v_max3_f32 v23, |v109|, |v111|, v23                        // 00000000ADC0: D1D30317 045EDF6D
	v_max3_f32 v22, |v112|, |v114|, v22                        // 00000000ADC8: D1D30316 045AE570
	v_max3_f32 v23, |v113|, |v115|, v23                        // 00000000ADD0: D1D30317 045EE771
	v_max3_f32 v22, |v116|, |v118|, v22                        // 00000000ADD8: D1D30316 045AED74
	v_max3_f32 v23, |v117|, |v119|, v23                        // 00000000ADE0: D1D30317 045EEF75
	v_max3_f32 v22, |v120|, |v122|, v22                        // 00000000ADE8: D1D30316 045AF578
	v_max3_f32 v23, |v121|, |v123|, v23                        // 00000000ADF0: D1D30317 045EF779
	v_max3_f32 v22, |v124|, |v126|, v22                        // 00000000ADF8: D1D30316 045AFD7C
	v_max3_f32 v23, |v125|, |v127|, v23                        // 00000000AE00: D1D30317 045EFF7D
	v_rcp_f32_e32 v22, v22                                     // 00000000AE08: 7E2C4516
	v_rcp_f32_e32 v23, v23                                     // 00000000AE0C: 7E2E4517
	v_mul_f32_e32 v22, 0x42fe0000, v22                         // 00000000AE10: 0A2C2CFF 42FE0000
	v_mul_f32_e32 v23, 0x42fe0000, v23                         // 00000000AE18: 0A2E2EFF 42FE0000
	v_mul_f32_e32 v128, v22, v128                              // 00000000AE20: 0B010116
	v_mul_f32_e32 v129, v22, v129                              // 00000000AE24: 0B030316
	v_mul_f32_e32 v130, v22, v130                              // 00000000AE28: 0B050516
	v_mul_f32_e32 v131, v22, v131                              // 00000000AE2C: 0B070716
	v_cvt_i32_f32_e32 v128, v128                               // 00000000AE30: 7F001180
	v_cvt_i32_f32_e32 v129, v129                               // 00000000AE34: 7F021181
	v_cvt_i32_f32_e32 v130, v130                               // 00000000AE38: 7F041182
	v_cvt_i32_f32_e32 v131, v131                               // 00000000AE3C: 7F061183
	v_perm_b32 v128, v129, v128, s53                           // 00000000AE40: D1ED0080 00D70181
	v_perm_b32 v128, v130, v128, s54                           // 00000000AE48: D1ED0080 00DB0182
	v_perm_b32 v128, v131, v128, s55                           // 00000000AE50: D1ED0080 00DF0183
	v_mul_f32_e32 v132, v23, v132                              // 00000000AE58: 0B090917
	v_mul_f32_e32 v133, v23, v133                              // 00000000AE5C: 0B0B0B17
	v_mul_f32_e32 v134, v23, v134                              // 00000000AE60: 0B0D0D17
	v_mul_f32_e32 v135, v23, v135                              // 00000000AE64: 0B0F0F17
	v_cvt_i32_f32_e32 v132, v132                               // 00000000AE68: 7F081184
	v_cvt_i32_f32_e32 v133, v133                               // 00000000AE6C: 7F0A1185
	v_cvt_i32_f32_e32 v134, v134                               // 00000000AE70: 7F0C1186
	v_cvt_i32_f32_e32 v135, v135                               // 00000000AE74: 7F0E1187
	v_perm_b32 v129, v133, v132, s53                           // 00000000AE78: D1ED0081 00D70985
	v_perm_b32 v129, v134, v129, s54                           // 00000000AE80: D1ED0081 00DB0386
	v_perm_b32 v129, v135, v129, s55                           // 00000000AE88: D1ED0081 00DF0387
	v_mul_f32_e32 v136, v22, v136                              // 00000000AE90: 0B111116
	v_mul_f32_e32 v137, v22, v137                              // 00000000AE94: 0B131316
	v_mul_f32_e32 v138, v22, v138                              // 00000000AE98: 0B151516
	v_mul_f32_e32 v139, v22, v139                              // 00000000AE9C: 0B171716
	v_cvt_i32_f32_e32 v136, v136                               // 00000000AEA0: 7F101188
	v_cvt_i32_f32_e32 v137, v137                               // 00000000AEA4: 7F121189
	v_cvt_i32_f32_e32 v138, v138                               // 00000000AEA8: 7F14118A
	v_cvt_i32_f32_e32 v139, v139                               // 00000000AEAC: 7F16118B
	v_perm_b32 v130, v137, v136, s53                           // 00000000AEB0: D1ED0082 00D71189
	v_perm_b32 v130, v138, v130, s54                           // 00000000AEB8: D1ED0082 00DB058A
	v_perm_b32 v130, v139, v130, s55                           // 00000000AEC0: D1ED0082 00DF058B
	v_mul_f32_e32 v140, v23, v140                              // 00000000AEC8: 0B191917
	v_mul_f32_e32 v141, v23, v141                              // 00000000AECC: 0B1B1B17
	v_mul_f32_e32 v142, v23, v142                              // 00000000AED0: 0B1D1D17
	v_mul_f32_e32 v143, v23, v143                              // 00000000AED4: 0B1F1F17
	v_cvt_i32_f32_e32 v140, v140                               // 00000000AED8: 7F18118C
	v_cvt_i32_f32_e32 v141, v141                               // 00000000AEDC: 7F1A118D
	v_cvt_i32_f32_e32 v142, v142                               // 00000000AEE0: 7F1C118E
	v_cvt_i32_f32_e32 v143, v143                               // 00000000AEE4: 7F1E118F
	v_perm_b32 v131, v141, v140, s53                           // 00000000AEE8: D1ED0083 00D7198D
	v_perm_b32 v131, v142, v131, s54                           // 00000000AEF0: D1ED0083 00DB078E
	v_perm_b32 v131, v143, v131, s55                           // 00000000AEF8: D1ED0083 00DF078F
	v_mul_f32_e32 v144, v22, v144                              // 00000000AF00: 0B212116
	v_mul_f32_e32 v145, v22, v145                              // 00000000AF04: 0B232316
	v_mul_f32_e32 v146, v22, v146                              // 00000000AF08: 0B252516
	v_mul_f32_e32 v147, v22, v147                              // 00000000AF0C: 0B272716
	v_cvt_i32_f32_e32 v144, v144                               // 00000000AF10: 7F201190
	v_cvt_i32_f32_e32 v145, v145                               // 00000000AF14: 7F221191
	v_cvt_i32_f32_e32 v146, v146                               // 00000000AF18: 7F241192
	v_cvt_i32_f32_e32 v147, v147                               // 00000000AF1C: 7F261193
	v_perm_b32 v132, v145, v144, s53                           // 00000000AF20: D1ED0084 00D72191
	v_perm_b32 v132, v146, v132, s54                           // 00000000AF28: D1ED0084 00DB0992
	v_perm_b32 v132, v147, v132, s55                           // 00000000AF30: D1ED0084 00DF0993
	v_mul_f32_e32 v148, v23, v148                              // 00000000AF38: 0B292917
	v_mul_f32_e32 v149, v23, v149                              // 00000000AF3C: 0B2B2B17
	v_mul_f32_e32 v150, v23, v150                              // 00000000AF40: 0B2D2D17
	v_mul_f32_e32 v151, v23, v151                              // 00000000AF44: 0B2F2F17
	v_cvt_i32_f32_e32 v148, v148                               // 00000000AF48: 7F281194
	v_cvt_i32_f32_e32 v149, v149                               // 00000000AF4C: 7F2A1195
	v_cvt_i32_f32_e32 v150, v150                               // 00000000AF50: 7F2C1196
	v_cvt_i32_f32_e32 v151, v151                               // 00000000AF54: 7F2E1197
	v_perm_b32 v133, v149, v148, s53                           // 00000000AF58: D1ED0085 00D72995
	v_perm_b32 v133, v150, v133, s54                           // 00000000AF60: D1ED0085 00DB0B96
	v_perm_b32 v133, v151, v133, s55                           // 00000000AF68: D1ED0085 00DF0B97
	v_mul_f32_e32 v152, v22, v152                              // 00000000AF70: 0B313116
	v_mul_f32_e32 v153, v22, v153                              // 00000000AF74: 0B333316
	v_mul_f32_e32 v154, v22, v154                              // 00000000AF78: 0B353516
	v_mul_f32_e32 v155, v22, v155                              // 00000000AF7C: 0B373716
	v_cvt_i32_f32_e32 v152, v152                               // 00000000AF80: 7F301198
	v_cvt_i32_f32_e32 v153, v153                               // 00000000AF84: 7F321199
	v_cvt_i32_f32_e32 v154, v154                               // 00000000AF88: 7F34119A
	v_cvt_i32_f32_e32 v155, v155                               // 00000000AF8C: 7F36119B
	v_perm_b32 v134, v153, v152, s53                           // 00000000AF90: D1ED0086 00D73199
	v_perm_b32 v134, v154, v134, s54                           // 00000000AF98: D1ED0086 00DB0D9A
	v_perm_b32 v134, v155, v134, s55                           // 00000000AFA0: D1ED0086 00DF0D9B
	v_mul_f32_e32 v156, v23, v156                              // 00000000AFA8: 0B393917
	v_mul_f32_e32 v157, v23, v157                              // 00000000AFAC: 0B3B3B17
	v_mul_f32_e32 v158, v23, v158                              // 00000000AFB0: 0B3D3D17
	v_mul_f32_e32 v159, v23, v159                              // 00000000AFB4: 0B3F3F17
	v_cvt_i32_f32_e32 v156, v156                               // 00000000AFB8: 7F38119C
	v_cvt_i32_f32_e32 v157, v157                               // 00000000AFBC: 7F3A119D
	v_cvt_i32_f32_e32 v158, v158                               // 00000000AFC0: 7F3C119E
	v_cvt_i32_f32_e32 v159, v159                               // 00000000AFC4: 7F3E119F
	v_perm_b32 v135, v157, v156, s53                           // 00000000AFC8: D1ED0087 00D7399D
	v_perm_b32 v135, v158, v135, s54                           // 00000000AFD0: D1ED0087 00DB0F9E
	v_perm_b32 v135, v159, v135, s55                           // 00000000AFD8: D1ED0087 00DF0F9F
	v_mul_f32_e32 v160, v22, v160                              // 00000000AFE0: 0B414116
	v_mul_f32_e32 v161, v22, v161                              // 00000000AFE4: 0B434316
	v_mul_f32_e32 v162, v22, v162                              // 00000000AFE8: 0B454516
	v_mul_f32_e32 v163, v22, v163                              // 00000000AFEC: 0B474716
	v_cvt_i32_f32_e32 v160, v160                               // 00000000AFF0: 7F4011A0
	v_cvt_i32_f32_e32 v161, v161                               // 00000000AFF4: 7F4211A1
	v_cvt_i32_f32_e32 v162, v162                               // 00000000AFF8: 7F4411A2
	v_cvt_i32_f32_e32 v163, v163                               // 00000000AFFC: 7F4611A3
	v_perm_b32 v136, v161, v160, s53                           // 00000000B000: D1ED0088 00D741A1
	v_perm_b32 v136, v162, v136, s54                           // 00000000B008: D1ED0088 00DB11A2
	v_perm_b32 v136, v163, v136, s55                           // 00000000B010: D1ED0088 00DF11A3
	v_mul_f32_e32 v164, v23, v164                              // 00000000B018: 0B494917
	v_mul_f32_e32 v165, v23, v165                              // 00000000B01C: 0B4B4B17
	v_mul_f32_e32 v166, v23, v166                              // 00000000B020: 0B4D4D17
	v_mul_f32_e32 v167, v23, v167                              // 00000000B024: 0B4F4F17
	v_cvt_i32_f32_e32 v164, v164                               // 00000000B028: 7F4811A4
	v_cvt_i32_f32_e32 v165, v165                               // 00000000B02C: 7F4A11A5
	v_cvt_i32_f32_e32 v166, v166                               // 00000000B030: 7F4C11A6
	v_cvt_i32_f32_e32 v167, v167                               // 00000000B034: 7F4E11A7
	v_perm_b32 v137, v165, v164, s53                           // 00000000B038: D1ED0089 00D749A5
	v_perm_b32 v137, v166, v137, s54                           // 00000000B040: D1ED0089 00DB13A6
	v_perm_b32 v137, v167, v137, s55                           // 00000000B048: D1ED0089 00DF13A7
	v_mul_f32_e32 v168, v22, v168                              // 00000000B050: 0B515116
	v_mul_f32_e32 v169, v22, v169                              // 00000000B054: 0B535316
	v_mul_f32_e32 v170, v22, v170                              // 00000000B058: 0B555516
	v_mul_f32_e32 v171, v22, v171                              // 00000000B05C: 0B575716
	v_cvt_i32_f32_e32 v168, v168                               // 00000000B060: 7F5011A8
	v_cvt_i32_f32_e32 v169, v169                               // 00000000B064: 7F5211A9
	v_cvt_i32_f32_e32 v170, v170                               // 00000000B068: 7F5411AA
	v_cvt_i32_f32_e32 v171, v171                               // 00000000B06C: 7F5611AB
	v_perm_b32 v138, v169, v168, s53                           // 00000000B070: D1ED008A 00D751A9
	v_perm_b32 v138, v170, v138, s54                           // 00000000B078: D1ED008A 00DB15AA
	v_perm_b32 v138, v171, v138, s55                           // 00000000B080: D1ED008A 00DF15AB
	v_mul_f32_e32 v172, v23, v172                              // 00000000B088: 0B595917
	v_mul_f32_e32 v173, v23, v173                              // 00000000B08C: 0B5B5B17
	v_mul_f32_e32 v174, v23, v174                              // 00000000B090: 0B5D5D17
	v_mul_f32_e32 v175, v23, v175                              // 00000000B094: 0B5F5F17
	v_cvt_i32_f32_e32 v172, v172                               // 00000000B098: 7F5811AC
	v_cvt_i32_f32_e32 v173, v173                               // 00000000B09C: 7F5A11AD
	v_cvt_i32_f32_e32 v174, v174                               // 00000000B0A0: 7F5C11AE
	v_cvt_i32_f32_e32 v175, v175                               // 00000000B0A4: 7F5E11AF
	v_perm_b32 v139, v173, v172, s53                           // 00000000B0A8: D1ED008B 00D759AD
	v_perm_b32 v139, v174, v139, s54                           // 00000000B0B0: D1ED008B 00DB17AE
	v_perm_b32 v139, v175, v139, s55                           // 00000000B0B8: D1ED008B 00DF17AF
	v_mul_f32_e32 v176, v22, v176                              // 00000000B0C0: 0B616116
	v_mul_f32_e32 v177, v22, v177                              // 00000000B0C4: 0B636316
	v_mul_f32_e32 v178, v22, v178                              // 00000000B0C8: 0B656516
	v_mul_f32_e32 v179, v22, v179                              // 00000000B0CC: 0B676716
	v_cvt_i32_f32_e32 v176, v176                               // 00000000B0D0: 7F6011B0
	v_cvt_i32_f32_e32 v177, v177                               // 00000000B0D4: 7F6211B1
	v_cvt_i32_f32_e32 v178, v178                               // 00000000B0D8: 7F6411B2
	v_cvt_i32_f32_e32 v179, v179                               // 00000000B0DC: 7F6611B3
	v_perm_b32 v140, v177, v176, s53                           // 00000000B0E0: D1ED008C 00D761B1
	v_perm_b32 v140, v178, v140, s54                           // 00000000B0E8: D1ED008C 00DB19B2
	v_perm_b32 v140, v179, v140, s55                           // 00000000B0F0: D1ED008C 00DF19B3
	v_mul_f32_e32 v180, v23, v180                              // 00000000B0F8: 0B696917
	v_mul_f32_e32 v181, v23, v181                              // 00000000B0FC: 0B6B6B17
	v_mul_f32_e32 v182, v23, v182                              // 00000000B100: 0B6D6D17
	v_mul_f32_e32 v183, v23, v183                              // 00000000B104: 0B6F6F17
	v_cvt_i32_f32_e32 v180, v180                               // 00000000B108: 7F6811B4
	v_cvt_i32_f32_e32 v181, v181                               // 00000000B10C: 7F6A11B5
	v_cvt_i32_f32_e32 v182, v182                               // 00000000B110: 7F6C11B6
	v_cvt_i32_f32_e32 v183, v183                               // 00000000B114: 7F6E11B7
	v_perm_b32 v141, v181, v180, s53                           // 00000000B118: D1ED008D 00D769B5
	v_perm_b32 v141, v182, v141, s54                           // 00000000B120: D1ED008D 00DB1BB6
	v_perm_b32 v141, v183, v141, s55                           // 00000000B128: D1ED008D 00DF1BB7
	v_rcp_f32_e32 v24, v22                                     // 00000000B130: 7E304516
	v_rcp_f32_e32 v25, v23                                     // 00000000B134: 7E324517
	v_lshrrev_b32_e32 v52, 5, v0                               // 00000000B138: 20680085
	v_lshlrev_b32_e32 v53, 5, v52                              // 00000000B13C: 246A6885
	v_and_b32_e32 v52, 31, v0                                  // 00000000B140: 2668009F
	v_lshrrev_b32_e32 v54, 4, v52                              // 00000000B144: 206C6884
	v_add_u32_e32 v53, v54, v53                                // 00000000B148: 686A6B36
	v_and_b32_e32 v52, 15, v0                                  // 00000000B14C: 2668008F
	v_lshlrev_b32_e32 v52, 1, v52                              // 00000000B150: 24686881
	v_add_u32_e32 v53, v52, v53                                // 00000000B154: 686A6B34
	v_lshlrev_b32_e32 v52, 2, v53                              // 00000000B158: 24686A82
	s_mul_i32 s60, 0x100, s7                                   // 00000000B15C: 923C07FF 00000100
	v_add_u32_e64 v52, v52, s60                                // 00000000B164: D1340034 00007934
	ds_write_b32 v52, v128 offset:18688                        // 00000000B16C: D81A4900 00008034
	ds_write_b32 v52, v129 offset:25856                        // 00000000B174: D81A6500 00008134
	ds_write_b32 v52, v130 offset:19712                        // 00000000B17C: D81A4D00 00008234
	ds_write_b32 v52, v131 offset:26880                        // 00000000B184: D81A6900 00008334
	ds_write_b32 v52, v132 offset:20736                        // 00000000B18C: D81A5100 00008434
	ds_write_b32 v52, v133 offset:27904                        // 00000000B194: D81A6D00 00008534
	ds_write_b32 v52, v134 offset:21760                        // 00000000B19C: D81A5500 00008634
	ds_write_b32 v52, v135 offset:28928                        // 00000000B1A4: D81A7100 00008734
	ds_write_b32 v52, v136 offset:22784                        // 00000000B1AC: D81A5900 00008834
	ds_write_b32 v52, v137 offset:29952                        // 00000000B1B4: D81A7500 00008934
	ds_write_b32 v52, v138 offset:23808                        // 00000000B1BC: D81A5D00 00008A34
	ds_write_b32 v52, v139 offset:30976                        // 00000000B1C4: D81A7900 00008B34
	ds_write_b32 v52, v140 offset:24832                        // 00000000B1CC: D81A6100 00008C34
	ds_write_b32 v52, v141 offset:32000                        // 00000000B1D4: D81A7D00 00008D34
	s_waitcnt lgkmcnt(0)                                       // 00000000B1DC: BF8CC07F
	s_barrier                                                  // 00000000B1E0: BF8A0000
	v_lshrrev_b32_e32 v52, 4, v0                               // 00000000B1E4: 20680084
	v_lshlrev_b32_e32 v53, 6, v52                              // 00000000B1E8: 246A6886
	v_and_b32_e32 v52, 15, v0                                  // 00000000B1EC: 2668008F
	v_lshlrev_b32_e32 v52, 1, v52                              // 00000000B1F0: 24686881
	v_add_u32_e32 v53, v52, v53                                // 00000000B1F4: 686A6B34
	v_lshlrev_b32_e32 v52, 2, v53                              // 00000000B1F8: 24686A82
	ds_read_b64 v[128:129], v52 offset:18688                   // 00000000B1FC: D8EC4900 80000034
	ds_read_b64 v[130:131], v52 offset:18816                   // 00000000B204: D8EC4980 82000034
	ds_read_b64 v[132:133], v52 offset:19712                   // 00000000B20C: D8EC4D00 84000034
	ds_read_b64 v[134:135], v52 offset:19840                   // 00000000B214: D8EC4D80 86000034
	ds_read_b64 v[136:137], v52 offset:20736                   // 00000000B21C: D8EC5100 88000034
	ds_read_b64 v[138:139], v52 offset:20864                   // 00000000B224: D8EC5180 8A000034
	ds_read_b64 v[140:141], v52 offset:21760                   // 00000000B22C: D8EC5500 8C000034
	ds_read_b64 v[142:143], v52 offset:21888                   // 00000000B234: D8EC5580 8E000034
	ds_read_b64 v[144:145], v52 offset:22784                   // 00000000B23C: D8EC5900 90000034
	ds_read_b64 v[146:147], v52 offset:22912                   // 00000000B244: D8EC5980 92000034
	ds_read_b64 v[148:149], v52 offset:23808                   // 00000000B24C: D8EC5D00 94000034
	ds_read_b64 v[150:151], v52 offset:23936                   // 00000000B254: D8EC5D80 96000034
	ds_read_b64 v[152:153], v52 offset:24832                   // 00000000B25C: D8EC6100 98000034
	ds_read_b64 v[154:155], v52 offset:24960                   // 00000000B264: D8EC6180 9A000034
	ds_read_b64 v[156:157], v52 offset:25856                   // 00000000B26C: D8EC6500 9C000034
	ds_read_b64 v[158:159], v52 offset:25984                   // 00000000B274: D8EC6580 9E000034
	ds_read_b64 v[160:161], v52 offset:26880                   // 00000000B27C: D8EC6900 A0000034
	ds_read_b64 v[162:163], v52 offset:27008                   // 00000000B284: D8EC6980 A2000034
	ds_read_b64 v[164:165], v52 offset:27904                   // 00000000B28C: D8EC6D00 A4000034
	ds_read_b64 v[166:167], v52 offset:28032                   // 00000000B294: D8EC6D80 A6000034
	ds_read_b64 v[168:169], v52 offset:28928                   // 00000000B29C: D8EC7100 A8000034
	ds_read_b64 v[170:171], v52 offset:29056                   // 00000000B2A4: D8EC7180 AA000034
	ds_read_b64 v[172:173], v52 offset:29952                   // 00000000B2AC: D8EC7500 AC000034
	ds_read_b64 v[174:175], v52 offset:30080                   // 00000000B2B4: D8EC7580 AE000034
	ds_read_b64 v[176:177], v52 offset:30976                   // 00000000B2BC: D8EC7900 B0000034
	ds_read_b64 v[178:179], v52 offset:31104                   // 00000000B2C4: D8EC7980 B2000034
	ds_read_b64 v[180:181], v52 offset:32000                   // 00000000B2CC: D8EC7D00 B4000034
	ds_read_b64 v[182:183], v52 offset:32128                   // 00000000B2D4: D8EC7D80 B6000034
	s_add_u32 s12, s56, s12                                    // 00000000B2DC: 800C0C38
	s_addc_u32 s13, 0, s13                                     // 00000000B2E0: 820D0D80
	s_add_u32 s16, s79, s16                                    // 00000000B2E4: 8010104F
	s_addc_u32 s17, 0, s17                                     // 00000000B2E8: 82111180
	s_mov_b32 s80, 0                                           // 00000000B2EC: BED00080
	s_waitcnt vmcnt(0) expcnt(0) lgkmcnt(0)                    // 00000000B2F0: BF8C0000

000000000000b2f4 <label_213D>:
	s_waitcnt vmcnt(41)                                        // 00000000B2F4: BF8C8F79
	s_barrier                                                  // 00000000B2F8: BF8A0000
	v_mfma_i32_16x16x32_i8 v[184:187], a[0:1], v[128:129], 0   // 00000000B2FC: D3D700B8 0A030100
	buffer_load_dwordx4 a[112:115], v41, s[12:15], 0 offen     // 00000000B304: E05C1000 80837029
	v_mfma_i32_16x16x32_i8 v[184:187], a[2:3], v[130:131], v[184:187]// 00000000B30C: D3D700B8 0EE30502
	v_mfma_i32_16x16x32_i8 v[188:191], a[0:1], v[156:157], 0   // 00000000B314: D3D700BC 0A033900
	v_mfma_i32_16x16x32_i8 v[188:191], a[2:3], v[158:159], v[188:191]// 00000000B31C: D3D700BC 0EF33D02
	v_mfma_i32_16x16x32_i8 v[192:195], a[4:5], v[128:129], 0   // 00000000B324: D3D700C0 0A030104
	buffer_load_dwordx4 a[116:119], v42, s[12:15], 0 offen     // 00000000B32C: E05C1000 8083742A
	v_mfma_i32_16x16x32_i8 v[192:195], a[6:7], v[130:131], v[192:195]// 00000000B334: D3D700C0 0F030506
	v_mfma_i32_16x16x32_i8 v[196:199], a[4:5], v[156:157], 0   // 00000000B33C: D3D700C4 0A033904
	v_mfma_i32_16x16x32_i8 v[196:199], a[6:7], v[158:159], v[196:199]// 00000000B344: D3D700C4 0F133D06
	v_mfma_i32_16x16x32_i8 v[200:203], a[8:9], v[128:129], 0   // 00000000B34C: D3D700C8 0A030108
	buffer_load_dwordx4 a[120:123], v43, s[12:15], 0 offen     // 00000000B354: E05C1000 8083782B
	v_mfma_i32_16x16x32_i8 v[200:203], a[10:11], v[130:131], v[200:203]// 00000000B35C: D3D700C8 0F23050A
	v_mfma_i32_16x16x32_i8 v[204:207], a[8:9], v[156:157], 0   // 00000000B364: D3D700CC 0A033908
	v_mfma_i32_16x16x32_i8 v[204:207], a[10:11], v[158:159], v[204:207]// 00000000B36C: D3D700CC 0F333D0A
	v_mfma_i32_16x16x32_i8 v[208:211], a[12:13], v[128:129], 0 // 00000000B374: D3D700D0 0A03010C
	buffer_load_dwordx4 a[124:127], v44, s[12:15], 0 offen     // 00000000B37C: E05C1000 80837C2C
	s_add_u32 s12, s78, s12                                    // 00000000B384: 800C0C4E
	s_addc_u32 s13, 0, s13                                     // 00000000B388: 820D0D80
	v_mfma_i32_16x16x32_i8 v[208:211], a[14:15], v[130:131], v[208:211]// 00000000B38C: D3D700D0 0F43050E
	v_mfma_i32_16x16x32_i8 v[212:215], a[12:13], v[156:157], 0 // 00000000B394: D3D700D4 0A03390C
	v_mfma_i32_16x16x32_i8 v[212:215], a[14:15], v[158:159], v[212:215]// 00000000B39C: D3D700D4 0F533D0E
	s_waitcnt vmcnt(41)                                        // 00000000B3A4: BF8C8F79
	v_mfma_i32_16x16x32_i8 v[184:187], a[16:17], v[132:133], v[184:187]// 00000000B3A8: D3D700B8 0EE30910
	buffer_load_dwordx4 a[128:131], v41, s[12:15], 0 offen     // 00000000B3B0: E05C1000 80838029
	v_mfma_i32_16x16x32_i8 v[184:187], a[18:19], v[134:135], v[184:187]// 00000000B3B8: D3D700B8 0EE30D12
	v_mfma_i32_16x16x32_i8 v[188:191], a[16:17], v[160:161], v[188:191]// 00000000B3C0: D3D700BC 0EF34110
	v_mfma_i32_16x16x32_i8 v[188:191], a[18:19], v[162:163], v[188:191]// 00000000B3C8: D3D700BC 0EF34512
	v_mfma_i32_16x16x32_i8 v[192:195], a[20:21], v[132:133], v[192:195]// 00000000B3D0: D3D700C0 0F030914
	buffer_load_dwordx4 a[132:135], v42, s[12:15], 0 offen     // 00000000B3D8: E05C1000 8083842A
	v_mfma_i32_16x16x32_i8 v[192:195], a[22:23], v[134:135], v[192:195]// 00000000B3E0: D3D700C0 0F030D16
	v_mfma_i32_16x16x32_i8 v[196:199], a[20:21], v[160:161], v[196:199]// 00000000B3E8: D3D700C4 0F134114
	v_mfma_i32_16x16x32_i8 v[196:199], a[22:23], v[162:163], v[196:199]// 00000000B3F0: D3D700C4 0F134516
	v_mfma_i32_16x16x32_i8 v[200:203], a[24:25], v[132:133], v[200:203]// 00000000B3F8: D3D700C8 0F230918
	buffer_load_dwordx4 a[136:139], v43, s[12:15], 0 offen     // 00000000B400: E05C1000 8083882B
	v_mfma_i32_16x16x32_i8 v[200:203], a[26:27], v[134:135], v[200:203]// 00000000B408: D3D700C8 0F230D1A
	v_mfma_i32_16x16x32_i8 v[204:207], a[24:25], v[160:161], v[204:207]// 00000000B410: D3D700CC 0F334118
	v_mfma_i32_16x16x32_i8 v[204:207], a[26:27], v[162:163], v[204:207]// 00000000B418: D3D700CC 0F33451A
	v_mfma_i32_16x16x32_i8 v[208:211], a[28:29], v[132:133], v[208:211]// 00000000B420: D3D700D0 0F43091C
	buffer_load_dwordx4 a[140:143], v44, s[12:15], 0 offen     // 00000000B428: E05C1000 80838C2C
	s_add_u32 s12, s78, s12                                    // 00000000B430: 800C0C4E
	s_addc_u32 s13, 0, s13                                     // 00000000B434: 820D0D80
	v_mfma_i32_16x16x32_i8 v[208:211], a[30:31], v[134:135], v[208:211]// 00000000B438: D3D700D0 0F430D1E
	v_mfma_i32_16x16x32_i8 v[212:215], a[28:29], v[160:161], v[212:215]// 00000000B440: D3D700D4 0F53411C
	v_mfma_i32_16x16x32_i8 v[212:215], a[30:31], v[162:163], v[212:215]// 00000000B448: D3D700D4 0F53451E
	s_waitcnt vmcnt(41)                                        // 00000000B450: BF8C8F79
	v_mfma_i32_16x16x32_i8 v[184:187], a[32:33], v[136:137], v[184:187]// 00000000B454: D3D700B8 0EE31120
	buffer_load_dwordx4 a[144:147], v41, s[12:15], 0 offen     // 00000000B45C: E05C1000 80839029
	v_mfma_i32_16x16x32_i8 v[184:187], a[34:35], v[138:139], v[184:187]// 00000000B464: D3D700B8 0EE31522
	v_mfma_i32_16x16x32_i8 v[188:191], a[32:33], v[164:165], v[188:191]// 00000000B46C: D3D700BC 0EF34920
	v_mfma_i32_16x16x32_i8 v[188:191], a[34:35], v[166:167], v[188:191]// 00000000B474: D3D700BC 0EF34D22
	v_mfma_i32_16x16x32_i8 v[192:195], a[36:37], v[136:137], v[192:195]// 00000000B47C: D3D700C0 0F031124
	buffer_load_dwordx4 a[148:151], v42, s[12:15], 0 offen     // 00000000B484: E05C1000 8083942A
	v_mfma_i32_16x16x32_i8 v[192:195], a[38:39], v[138:139], v[192:195]// 00000000B48C: D3D700C0 0F031526
	v_mfma_i32_16x16x32_i8 v[196:199], a[36:37], v[164:165], v[196:199]// 00000000B494: D3D700C4 0F134924
	v_mfma_i32_16x16x32_i8 v[196:199], a[38:39], v[166:167], v[196:199]// 00000000B49C: D3D700C4 0F134D26
	v_mfma_i32_16x16x32_i8 v[200:203], a[40:41], v[136:137], v[200:203]// 00000000B4A4: D3D700C8 0F231128
	buffer_load_dwordx4 a[152:155], v43, s[12:15], 0 offen     // 00000000B4AC: E05C1000 8083982B
	v_mfma_i32_16x16x32_i8 v[200:203], a[42:43], v[138:139], v[200:203]// 00000000B4B4: D3D700C8 0F23152A
	v_mfma_i32_16x16x32_i8 v[204:207], a[40:41], v[164:165], v[204:207]// 00000000B4BC: D3D700CC 0F334928
	v_mfma_i32_16x16x32_i8 v[204:207], a[42:43], v[166:167], v[204:207]// 00000000B4C4: D3D700CC 0F334D2A
	v_mfma_i32_16x16x32_i8 v[208:211], a[44:45], v[136:137], v[208:211]// 00000000B4CC: D3D700D0 0F43112C
	buffer_load_dwordx4 a[156:159], v44, s[12:15], 0 offen     // 00000000B4D4: E05C1000 80839C2C
	s_add_u32 s12, s78, s12                                    // 00000000B4DC: 800C0C4E
	s_addc_u32 s13, 0, s13                                     // 00000000B4E0: 820D0D80
	v_mfma_i32_16x16x32_i8 v[208:211], a[46:47], v[138:139], v[208:211]// 00000000B4E4: D3D700D0 0F43152E
	v_mfma_i32_16x16x32_i8 v[212:215], a[44:45], v[164:165], v[212:215]// 00000000B4EC: D3D700D4 0F53492C
	v_mfma_i32_16x16x32_i8 v[212:215], a[46:47], v[166:167], v[212:215]// 00000000B4F4: D3D700D4 0F534D2E
	s_waitcnt vmcnt(41)                                        // 00000000B4FC: BF8C8F79
	v_mfma_i32_16x16x32_i8 v[184:187], a[48:49], v[140:141], v[184:187]// 00000000B500: D3D700B8 0EE31930
	buffer_load_dwordx4 a[160:163], v41, s[12:15], 0 offen     // 00000000B508: E05C1000 8083A029
	v_mfma_i32_16x16x32_i8 v[184:187], a[50:51], v[142:143], v[184:187]// 00000000B510: D3D700B8 0EE31D32
	v_mfma_i32_16x16x32_i8 v[188:191], a[48:49], v[168:169], v[188:191]// 00000000B518: D3D700BC 0EF35130
	v_mfma_i32_16x16x32_i8 v[188:191], a[50:51], v[170:171], v[188:191]// 00000000B520: D3D700BC 0EF35532
	v_mfma_i32_16x16x32_i8 v[192:195], a[52:53], v[140:141], v[192:195]// 00000000B528: D3D700C0 0F031934
	buffer_load_dwordx4 a[164:167], v42, s[12:15], 0 offen     // 00000000B530: E05C1000 8083A42A
	v_mfma_i32_16x16x32_i8 v[192:195], a[54:55], v[142:143], v[192:195]// 00000000B538: D3D700C0 0F031D36
	v_mfma_i32_16x16x32_i8 v[196:199], a[52:53], v[168:169], v[196:199]// 00000000B540: D3D700C4 0F135134
	v_mfma_i32_16x16x32_i8 v[196:199], a[54:55], v[170:171], v[196:199]// 00000000B548: D3D700C4 0F135536
	v_mfma_i32_16x16x32_i8 v[200:203], a[56:57], v[140:141], v[200:203]// 00000000B550: D3D700C8 0F231938
	buffer_load_dwordx4 a[168:171], v43, s[12:15], 0 offen     // 00000000B558: E05C1000 8083A82B
	v_mfma_i32_16x16x32_i8 v[200:203], a[58:59], v[142:143], v[200:203]// 00000000B560: D3D700C8 0F231D3A
	v_mfma_i32_16x16x32_i8 v[204:207], a[56:57], v[168:169], v[204:207]// 00000000B568: D3D700CC 0F335138
	v_mfma_i32_16x16x32_i8 v[204:207], a[58:59], v[170:171], v[204:207]// 00000000B570: D3D700CC 0F33553A
	v_mfma_i32_16x16x32_i8 v[208:211], a[60:61], v[140:141], v[208:211]// 00000000B578: D3D700D0 0F43193C
	buffer_load_dwordx4 a[172:175], v44, s[12:15], 0 offen     // 00000000B580: E05C1000 8083AC2C
	s_add_u32 s12, s78, s12                                    // 00000000B588: 800C0C4E
	s_addc_u32 s13, 0, s13                                     // 00000000B58C: 820D0D80
	v_mfma_i32_16x16x32_i8 v[208:211], a[62:63], v[142:143], v[208:211]// 00000000B590: D3D700D0 0F431D3E
	v_mfma_i32_16x16x32_i8 v[212:215], a[60:61], v[168:169], v[212:215]// 00000000B598: D3D700D4 0F53513C
	v_mfma_i32_16x16x32_i8 v[212:215], a[62:63], v[170:171], v[212:215]// 00000000B5A0: D3D700D4 0F53553E
	s_waitcnt vmcnt(41)                                        // 00000000B5A8: BF8C8F79
	v_mfma_i32_16x16x32_i8 v[184:187], a[64:65], v[144:145], v[184:187]// 00000000B5AC: D3D700B8 0EE32140
	buffer_load_dwordx4 a[176:179], v41, s[12:15], 0 offen     // 00000000B5B4: E05C1000 8083B029
	v_mfma_i32_16x16x32_i8 v[184:187], a[66:67], v[146:147], v[184:187]// 00000000B5BC: D3D700B8 0EE32542
	v_mfma_i32_16x16x32_i8 v[188:191], a[64:65], v[172:173], v[188:191]// 00000000B5C4: D3D700BC 0EF35940
	v_mfma_i32_16x16x32_i8 v[188:191], a[66:67], v[174:175], v[188:191]// 00000000B5CC: D3D700BC 0EF35D42
	v_mfma_i32_16x16x32_i8 v[192:195], a[68:69], v[144:145], v[192:195]// 00000000B5D4: D3D700C0 0F032144
	buffer_load_dwordx4 a[180:183], v42, s[12:15], 0 offen     // 00000000B5DC: E05C1000 8083B42A
	v_mfma_i32_16x16x32_i8 v[192:195], a[70:71], v[146:147], v[192:195]// 00000000B5E4: D3D700C0 0F032546
	v_mfma_i32_16x16x32_i8 v[196:199], a[68:69], v[172:173], v[196:199]// 00000000B5EC: D3D700C4 0F135944
	v_mfma_i32_16x16x32_i8 v[196:199], a[70:71], v[174:175], v[196:199]// 00000000B5F4: D3D700C4 0F135D46
	v_mfma_i32_16x16x32_i8 v[200:203], a[72:73], v[144:145], v[200:203]// 00000000B5FC: D3D700C8 0F232148
	buffer_load_dwordx4 a[184:187], v43, s[12:15], 0 offen     // 00000000B604: E05C1000 8083B82B
	v_mfma_i32_16x16x32_i8 v[200:203], a[74:75], v[146:147], v[200:203]// 00000000B60C: D3D700C8 0F23254A
	v_mfma_i32_16x16x32_i8 v[204:207], a[72:73], v[172:173], v[204:207]// 00000000B614: D3D700CC 0F335948
	v_mfma_i32_16x16x32_i8 v[204:207], a[74:75], v[174:175], v[204:207]// 00000000B61C: D3D700CC 0F335D4A
	v_mfma_i32_16x16x32_i8 v[208:211], a[76:77], v[144:145], v[208:211]// 00000000B624: D3D700D0 0F43214C
	buffer_load_dwordx4 a[188:191], v44, s[12:15], 0 offen     // 00000000B62C: E05C1000 8083BC2C
	s_add_u32 s12, s78, s12                                    // 00000000B634: 800C0C4E
	s_addc_u32 s13, 0, s13                                     // 00000000B638: 820D0D80
	v_mfma_i32_16x16x32_i8 v[208:211], a[78:79], v[146:147], v[208:211]// 00000000B63C: D3D700D0 0F43254E
	v_mfma_i32_16x16x32_i8 v[212:215], a[76:77], v[172:173], v[212:215]// 00000000B644: D3D700D4 0F53594C
	v_mfma_i32_16x16x32_i8 v[212:215], a[78:79], v[174:175], v[212:215]// 00000000B64C: D3D700D4 0F535D4E
	s_waitcnt vmcnt(41)                                        // 00000000B654: BF8C8F79
	v_mfma_i32_16x16x32_i8 v[184:187], a[80:81], v[148:149], v[184:187]// 00000000B658: D3D700B8 0EE32950
	buffer_load_dwordx4 a[192:195], v41, s[12:15], 0 offen     // 00000000B660: E05C1000 8083C029
	v_mfma_i32_16x16x32_i8 v[184:187], a[82:83], v[150:151], v[184:187]// 00000000B668: D3D700B8 0EE32D52
	v_mfma_i32_16x16x32_i8 v[188:191], a[80:81], v[176:177], v[188:191]// 00000000B670: D3D700BC 0EF36150
	v_mfma_i32_16x16x32_i8 v[188:191], a[82:83], v[178:179], v[188:191]// 00000000B678: D3D700BC 0EF36552
	v_mfma_i32_16x16x32_i8 v[192:195], a[84:85], v[148:149], v[192:195]// 00000000B680: D3D700C0 0F032954
	buffer_load_dwordx4 a[196:199], v42, s[12:15], 0 offen     // 00000000B688: E05C1000 8083C42A
	v_mfma_i32_16x16x32_i8 v[192:195], a[86:87], v[150:151], v[192:195]// 00000000B690: D3D700C0 0F032D56
	v_mfma_i32_16x16x32_i8 v[196:199], a[84:85], v[176:177], v[196:199]// 00000000B698: D3D700C4 0F136154
	v_mfma_i32_16x16x32_i8 v[196:199], a[86:87], v[178:179], v[196:199]// 00000000B6A0: D3D700C4 0F136556
	v_mfma_i32_16x16x32_i8 v[200:203], a[88:89], v[148:149], v[200:203]// 00000000B6A8: D3D700C8 0F232958
	buffer_load_dwordx4 a[200:203], v43, s[12:15], 0 offen     // 00000000B6B0: E05C1000 8083C82B
	v_mfma_i32_16x16x32_i8 v[200:203], a[90:91], v[150:151], v[200:203]// 00000000B6B8: D3D700C8 0F232D5A
	v_mfma_i32_16x16x32_i8 v[204:207], a[88:89], v[176:177], v[204:207]// 00000000B6C0: D3D700CC 0F336158
	v_mfma_i32_16x16x32_i8 v[204:207], a[90:91], v[178:179], v[204:207]// 00000000B6C8: D3D700CC 0F33655A
	v_mfma_i32_16x16x32_i8 v[208:211], a[92:93], v[148:149], v[208:211]// 00000000B6D0: D3D700D0 0F43295C
	buffer_load_dwordx4 a[204:207], v44, s[12:15], 0 offen     // 00000000B6D8: E05C1000 8083CC2C
	s_add_u32 s12, s78, s12                                    // 00000000B6E0: 800C0C4E
	s_addc_u32 s13, 0, s13                                     // 00000000B6E4: 820D0D80
	v_mfma_i32_16x16x32_i8 v[208:211], a[94:95], v[150:151], v[208:211]// 00000000B6E8: D3D700D0 0F432D5E
	v_mfma_i32_16x16x32_i8 v[212:215], a[92:93], v[176:177], v[212:215]// 00000000B6F0: D3D700D4 0F53615C
	v_mfma_i32_16x16x32_i8 v[212:215], a[94:95], v[178:179], v[212:215]// 00000000B6F8: D3D700D4 0F53655E
	s_waitcnt vmcnt(40)                                        // 00000000B700: BF8C8F78
	v_mfma_i32_16x16x32_i8 v[184:187], a[96:97], v[152:153], v[184:187]// 00000000B704: D3D700B8 0EE33160
	buffer_load_dwordx4 a[208:211], v41, s[12:15], 0 offen     // 00000000B70C: E05C1000 8083D029
	v_mfma_i32_16x16x32_i8 v[184:187], a[98:99], v[154:155], v[184:187]// 00000000B714: D3D700B8 0EE33562
	v_mfma_i32_16x16x32_i8 v[188:191], a[96:97], v[180:181], v[188:191]// 00000000B71C: D3D700BC 0EF36960
	buffer_load_dword v13, v5, s[16:19], 0 offen               // 00000000B724: E0501000 80040D05
	v_mfma_i32_16x16x32_i8 v[188:191], a[98:99], v[182:183], v[188:191]// 00000000B72C: D3D700BC 0EF36D62
	v_mfma_i32_16x16x32_i8 v[192:195], a[100:101], v[152:153], v[192:195]// 00000000B734: D3D700C0 0F033164
	buffer_load_dwordx4 a[212:215], v42, s[12:15], 0 offen     // 00000000B73C: E05C1000 8083D42A
	v_mfma_i32_16x16x32_i8 v[192:195], a[102:103], v[154:155], v[192:195]// 00000000B744: D3D700C0 0F033566
	v_mfma_i32_16x16x32_i8 v[196:199], a[100:101], v[180:181], v[196:199]// 00000000B74C: D3D700C4 0F136964
	v_mfma_i32_16x16x32_i8 v[196:199], a[102:103], v[182:183], v[196:199]// 00000000B754: D3D700C4 0F136D66
	v_mfma_i32_16x16x32_i8 v[200:203], a[104:105], v[152:153], v[200:203]// 00000000B75C: D3D700C8 0F233168
	buffer_load_dwordx4 a[216:219], v43, s[12:15], 0 offen     // 00000000B764: E05C1000 8083D82B
	v_mfma_i32_16x16x32_i8 v[200:203], a[106:107], v[154:155], v[200:203]// 00000000B76C: D3D700C8 0F23356A
	v_mfma_i32_16x16x32_i8 v[204:207], a[104:105], v[180:181], v[204:207]// 00000000B774: D3D700CC 0F336968
	v_mfma_i32_16x16x32_i8 v[204:207], a[106:107], v[182:183], v[204:207]// 00000000B77C: D3D700CC 0F336D6A
	v_mfma_i32_16x16x32_i8 v[208:211], a[108:109], v[152:153], v[208:211]// 00000000B784: D3D700D0 0F43316C
	buffer_load_dwordx4 a[220:223], v44, s[12:15], 0 offen     // 00000000B78C: E05C1000 8083DC2C
	v_mfma_i32_16x16x32_i8 v[208:211], a[110:111], v[154:155], v[208:211]// 00000000B794: D3D700D0 0F43356E
	v_mfma_i32_16x16x32_i8 v[212:215], a[108:109], v[180:181], v[212:215]// 00000000B79C: D3D700D4 0F53696C
	v_mfma_i32_16x16x32_i8 v[212:215], a[110:111], v[182:183], v[212:215]// 00000000B7A4: D3D700D4 0F536D6E
	s_add_u32 s60, 0x200, s80                                  // 00000000B7AC: 803C50FF 00000200
	s_cmp_lt_u32 s60, s81                                      // 00000000B7B4: BF0A513C
	s_cselect_b32 s56, s56, 0                                  // 00000000B7B8: 85388038
	s_cselect_b32 s78, s78, 0                                  // 00000000B7BC: 854E804E
	s_cselect_b32 s79, s79, 0                                  // 00000000B7C0: 854F804F
	s_add_u32 s12, s56, s12                                    // 00000000B7C4: 800C0C38
	s_addc_u32 s13, 0, s13                                     // 00000000B7C8: 820D0D80
	s_add_u32 s16, s79, s16                                    // 00000000B7CC: 8010104F
	s_addc_u32 s17, 0, s17                                     // 00000000B7D0: 82111180
	v_cvt_f32_i32_e32 v184, v184                               // 00000000B7D4: 7F700BB8
	v_cvt_f32_i32_e32 v185, v185                               // 00000000B7D8: 7F720BB9
	v_cvt_f32_i32_e32 v186, v186                               // 00000000B7DC: 7F740BBA
	v_cvt_f32_i32_e32 v187, v187                               // 00000000B7E0: 7F760BBB
	v_mul_f32_e32 v184, v24, v184                              // 00000000B7E4: 0B717118
	v_mul_f32_e32 v185, v24, v185                              // 00000000B7E8: 0B737318
	v_mul_f32_e32 v186, v24, v186                              // 00000000B7EC: 0B757518
	v_mul_f32_e32 v187, v24, v187                              // 00000000B7F0: 0B777718
	v_mul_f32_dpp v184, v12, v184 row_newbcast:0 row_mask:0xf bank_mask:0xf// 00000000B7F4: 0B7170FA FF01500C
	v_mul_f32_dpp v185, v12, v185 row_newbcast:1 row_mask:0xf bank_mask:0xf// 00000000B7FC: 0B7372FA FF01510C
	v_mul_f32_dpp v186, v12, v186 row_newbcast:2 row_mask:0xf bank_mask:0xf// 00000000B804: 0B7574FA FF01520C
	v_mul_f32_dpp v187, v12, v187 row_newbcast:3 row_mask:0xf bank_mask:0xf// 00000000B80C: 0B7776FA FF01530C
	v_mul_f32_e32 v184, v20, v184                              // 00000000B814: 0B717114
	v_mul_f32_e32 v185, v20, v185                              // 00000000B818: 0B737314
	v_mul_f32_e32 v186, v20, v186                              // 00000000B81C: 0B757514
	v_mul_f32_e32 v187, v20, v187                              // 00000000B820: 0B777714
	v_cvt_f32_i32_e32 v188, v188                               // 00000000B824: 7F780BBC
	v_cvt_f32_i32_e32 v189, v189                               // 00000000B828: 7F7A0BBD
	v_cvt_f32_i32_e32 v190, v190                               // 00000000B82C: 7F7C0BBE
	v_cvt_f32_i32_e32 v191, v191                               // 00000000B830: 7F7E0BBF
	v_mul_f32_e32 v188, v25, v188                              // 00000000B834: 0B797919
	v_mul_f32_e32 v189, v25, v189                              // 00000000B838: 0B7B7B19
	v_mul_f32_e32 v190, v25, v190                              // 00000000B83C: 0B7D7D19
	v_mul_f32_e32 v191, v25, v191                              // 00000000B840: 0B7F7F19
	v_mul_f32_dpp v188, v12, v188 row_newbcast:0 row_mask:0xf bank_mask:0xf// 00000000B844: 0B7978FA FF01500C
	v_mul_f32_dpp v189, v12, v189 row_newbcast:1 row_mask:0xf bank_mask:0xf// 00000000B84C: 0B7B7AFA FF01510C
	v_mul_f32_dpp v190, v12, v190 row_newbcast:2 row_mask:0xf bank_mask:0xf// 00000000B854: 0B7D7CFA FF01520C
	v_mul_f32_dpp v191, v12, v191 row_newbcast:3 row_mask:0xf bank_mask:0xf// 00000000B85C: 0B7F7EFA FF01530C
	v_mul_f32_e32 v188, v21, v188                              // 00000000B864: 0B797915
	v_mul_f32_e32 v189, v21, v189                              // 00000000B868: 0B7B7B15
	v_mul_f32_e32 v190, v21, v190                              // 00000000B86C: 0B7D7D15
	v_mul_f32_e32 v191, v21, v191                              // 00000000B870: 0B7F7F15
	v_cvt_f32_i32_e32 v192, v192                               // 00000000B874: 7F800BC0
	v_cvt_f32_i32_e32 v193, v193                               // 00000000B878: 7F820BC1
	v_cvt_f32_i32_e32 v194, v194                               // 00000000B87C: 7F840BC2
	v_cvt_f32_i32_e32 v195, v195                               // 00000000B880: 7F860BC3
	v_mul_f32_e32 v192, v24, v192                              // 00000000B884: 0B818118
	v_mul_f32_e32 v193, v24, v193                              // 00000000B888: 0B838318
	v_mul_f32_e32 v194, v24, v194                              // 00000000B88C: 0B858518
	v_mul_f32_e32 v195, v24, v195                              // 00000000B890: 0B878718
	v_mul_f32_dpp v192, v12, v192 row_newbcast:4 row_mask:0xf bank_mask:0xf// 00000000B894: 0B8180FA FF01540C
	v_mul_f32_dpp v193, v12, v193 row_newbcast:5 row_mask:0xf bank_mask:0xf// 00000000B89C: 0B8382FA FF01550C
	v_mul_f32_dpp v194, v12, v194 row_newbcast:6 row_mask:0xf bank_mask:0xf// 00000000B8A4: 0B8584FA FF01560C
	v_mul_f32_dpp v195, v12, v195 row_newbcast:7 row_mask:0xf bank_mask:0xf// 00000000B8AC: 0B8786FA FF01570C
	v_mul_f32_e32 v192, v20, v192                              // 00000000B8B4: 0B818114
	v_mul_f32_e32 v193, v20, v193                              // 00000000B8B8: 0B838314
	v_mul_f32_e32 v194, v20, v194                              // 00000000B8BC: 0B858514
	v_mul_f32_e32 v195, v20, v195                              // 00000000B8C0: 0B878714
	v_cvt_f32_i32_e32 v196, v196                               // 00000000B8C4: 7F880BC4
	v_cvt_f32_i32_e32 v197, v197                               // 00000000B8C8: 7F8A0BC5
	v_cvt_f32_i32_e32 v198, v198                               // 00000000B8CC: 7F8C0BC6
	v_cvt_f32_i32_e32 v199, v199                               // 00000000B8D0: 7F8E0BC7
	v_mul_f32_e32 v196, v25, v196                              // 00000000B8D4: 0B898919
	v_mul_f32_e32 v197, v25, v197                              // 00000000B8D8: 0B8B8B19
	v_mul_f32_e32 v198, v25, v198                              // 00000000B8DC: 0B8D8D19
	v_mul_f32_e32 v199, v25, v199                              // 00000000B8E0: 0B8F8F19
	v_mul_f32_dpp v196, v12, v196 row_newbcast:4 row_mask:0xf bank_mask:0xf// 00000000B8E4: 0B8988FA FF01540C
	v_mul_f32_dpp v197, v12, v197 row_newbcast:5 row_mask:0xf bank_mask:0xf// 00000000B8EC: 0B8B8AFA FF01550C
	v_mul_f32_dpp v198, v12, v198 row_newbcast:6 row_mask:0xf bank_mask:0xf// 00000000B8F4: 0B8D8CFA FF01560C
	v_mul_f32_dpp v199, v12, v199 row_newbcast:7 row_mask:0xf bank_mask:0xf// 00000000B8FC: 0B8F8EFA FF01570C
	v_mul_f32_e32 v196, v21, v196                              // 00000000B904: 0B898915
	v_mul_f32_e32 v197, v21, v197                              // 00000000B908: 0B8B8B15
	v_mul_f32_e32 v198, v21, v198                              // 00000000B90C: 0B8D8D15
	v_mul_f32_e32 v199, v21, v199                              // 00000000B910: 0B8F8F15
	v_cvt_f32_i32_e32 v200, v200                               // 00000000B914: 7F900BC8
	v_cvt_f32_i32_e32 v201, v201                               // 00000000B918: 7F920BC9
	v_cvt_f32_i32_e32 v202, v202                               // 00000000B91C: 7F940BCA
	v_cvt_f32_i32_e32 v203, v203                               // 00000000B920: 7F960BCB
	v_mul_f32_e32 v200, v24, v200                              // 00000000B924: 0B919118
	v_mul_f32_e32 v201, v24, v201                              // 00000000B928: 0B939318
	v_mul_f32_e32 v202, v24, v202                              // 00000000B92C: 0B959518
	v_mul_f32_e32 v203, v24, v203                              // 00000000B930: 0B979718
	v_mul_f32_dpp v200, v12, v200 row_newbcast:8 row_mask:0xf bank_mask:0xf// 00000000B934: 0B9190FA FF01580C
	v_mul_f32_dpp v201, v12, v201 row_newbcast:9 row_mask:0xf bank_mask:0xf// 00000000B93C: 0B9392FA FF01590C
	v_mul_f32_dpp v202, v12, v202 row_newbcast:10 row_mask:0xf bank_mask:0xf// 00000000B944: 0B9594FA FF015A0C
	v_mul_f32_dpp v203, v12, v203 row_newbcast:11 row_mask:0xf bank_mask:0xf// 00000000B94C: 0B9796FA FF015B0C
	v_mul_f32_e32 v200, v20, v200                              // 00000000B954: 0B919114
	v_mul_f32_e32 v201, v20, v201                              // 00000000B958: 0B939314
	v_mul_f32_e32 v202, v20, v202                              // 00000000B95C: 0B959514
	v_mul_f32_e32 v203, v20, v203                              // 00000000B960: 0B979714
	v_cvt_f32_i32_e32 v204, v204                               // 00000000B964: 7F980BCC
	v_cvt_f32_i32_e32 v205, v205                               // 00000000B968: 7F9A0BCD
	v_cvt_f32_i32_e32 v206, v206                               // 00000000B96C: 7F9C0BCE
	v_cvt_f32_i32_e32 v207, v207                               // 00000000B970: 7F9E0BCF
	v_mul_f32_e32 v204, v25, v204                              // 00000000B974: 0B999919
	v_mul_f32_e32 v205, v25, v205                              // 00000000B978: 0B9B9B19
	v_mul_f32_e32 v206, v25, v206                              // 00000000B97C: 0B9D9D19
	v_mul_f32_e32 v207, v25, v207                              // 00000000B980: 0B9F9F19
	v_mul_f32_dpp v204, v12, v204 row_newbcast:8 row_mask:0xf bank_mask:0xf// 00000000B984: 0B9998FA FF01580C
	v_mul_f32_dpp v205, v12, v205 row_newbcast:9 row_mask:0xf bank_mask:0xf// 00000000B98C: 0B9B9AFA FF01590C
	v_mul_f32_dpp v206, v12, v206 row_newbcast:10 row_mask:0xf bank_mask:0xf// 00000000B994: 0B9D9CFA FF015A0C
	v_mul_f32_dpp v207, v12, v207 row_newbcast:11 row_mask:0xf bank_mask:0xf// 00000000B99C: 0B9F9EFA FF015B0C
	v_mul_f32_e32 v204, v21, v204                              // 00000000B9A4: 0B999915
	v_mul_f32_e32 v205, v21, v205                              // 00000000B9A8: 0B9B9B15
	v_mul_f32_e32 v206, v21, v206                              // 00000000B9AC: 0B9D9D15
	v_mul_f32_e32 v207, v21, v207                              // 00000000B9B0: 0B9F9F15
	v_cvt_f32_i32_e32 v208, v208                               // 00000000B9B4: 7FA00BD0
	v_cvt_f32_i32_e32 v209, v209                               // 00000000B9B8: 7FA20BD1
	v_cvt_f32_i32_e32 v210, v210                               // 00000000B9BC: 7FA40BD2
	v_cvt_f32_i32_e32 v211, v211                               // 00000000B9C0: 7FA60BD3
	v_mul_f32_e32 v208, v24, v208                              // 00000000B9C4: 0BA1A118
	v_mul_f32_e32 v209, v24, v209                              // 00000000B9C8: 0BA3A318
	v_mul_f32_e32 v210, v24, v210                              // 00000000B9CC: 0BA5A518
	v_mul_f32_e32 v211, v24, v211                              // 00000000B9D0: 0BA7A718
	v_mul_f32_dpp v208, v12, v208 row_newbcast:12 row_mask:0xf bank_mask:0xf// 00000000B9D4: 0BA1A0FA FF015C0C
	v_mul_f32_dpp v209, v12, v209 row_newbcast:13 row_mask:0xf bank_mask:0xf// 00000000B9DC: 0BA3A2FA FF015D0C
	v_mul_f32_dpp v210, v12, v210 row_newbcast:14 row_mask:0xf bank_mask:0xf// 00000000B9E4: 0BA5A4FA FF015E0C
	v_mul_f32_dpp v211, v12, v211 row_newbcast:15 row_mask:0xf bank_mask:0xf// 00000000B9EC: 0BA7A6FA FF015F0C
	v_mul_f32_e32 v208, v20, v208                              // 00000000B9F4: 0BA1A114
	v_mul_f32_e32 v209, v20, v209                              // 00000000B9F8: 0BA3A314
	v_mul_f32_e32 v210, v20, v210                              // 00000000B9FC: 0BA5A514
	v_mul_f32_e32 v211, v20, v211                              // 00000000BA00: 0BA7A714
	v_cvt_f32_i32_e32 v212, v212                               // 00000000BA04: 7FA80BD4
	v_cvt_f32_i32_e32 v213, v213                               // 00000000BA08: 7FAA0BD5
	v_cvt_f32_i32_e32 v214, v214                               // 00000000BA0C: 7FAC0BD6
	v_cvt_f32_i32_e32 v215, v215                               // 00000000BA10: 7FAE0BD7
	v_mul_f32_e32 v212, v25, v212                              // 00000000BA14: 0BA9A919
	v_mul_f32_e32 v213, v25, v213                              // 00000000BA18: 0BABAB19
	v_mul_f32_e32 v214, v25, v214                              // 00000000BA1C: 0BADAD19
	v_mul_f32_e32 v215, v25, v215                              // 00000000BA20: 0BAFAF19
	v_mul_f32_dpp v212, v12, v212 row_newbcast:12 row_mask:0xf bank_mask:0xf// 00000000BA24: 0BA9A8FA FF015C0C
	v_mul_f32_dpp v213, v12, v213 row_newbcast:13 row_mask:0xf bank_mask:0xf// 00000000BA2C: 0BABAAFA FF015D0C
	v_mul_f32_dpp v214, v12, v214 row_newbcast:14 row_mask:0xf bank_mask:0xf// 00000000BA34: 0BADACFA FF015E0C
	v_mul_f32_dpp v215, v12, v215 row_newbcast:15 row_mask:0xf bank_mask:0xf// 00000000BA3C: 0BAFAEFA FF015F0C
	v_mul_f32_e32 v212, v21, v212                              // 00000000BA44: 0BA9A915
	v_mul_f32_e32 v213, v21, v213                              // 00000000BA48: 0BABAB15
	v_mul_f32_e32 v214, v21, v214                              // 00000000BA4C: 0BADAD15
	v_mul_f32_e32 v215, v21, v215                              // 00000000BA50: 0BAFAF15
	v_cmp_u_f32_e64 s[48:49], v184, v184                       // 00000000BA54: D0480030 000371B8
	v_add3_u32 v45, v184, v48, 1                               // 00000000BA5C: D1FF002D 020661B8
	v_cndmask_b32_e64 v52, v45, v47, s[48:49]                  // 00000000BA64: D1000034 00C25F2D
	v_cmp_u_f32_e64 s[48:49], v185, v185                       // 00000000BA6C: D0480030 000373B9
	v_add3_u32 v45, v185, v48, 1                               // 00000000BA74: D1FF002D 020661B9
	v_cndmask_b32_e64 v53, v45, v47, s[48:49]                  // 00000000BA7C: D1000035 00C25F2D
	v_perm_b32 v184, v53, v52, s52                             // 00000000BA84: D1ED00B8 00D26935
	v_cmp_u_f32_e64 s[48:49], v186, v186                       // 00000000BA8C: D0480030 000375BA
	v_add3_u32 v45, v186, v48, 1                               // 00000000BA94: D1FF002D 020661BA
	v_cndmask_b32_e64 v52, v45, v47, s[48:49]                  // 00000000BA9C: D1000034 00C25F2D
	v_cmp_u_f32_e64 s[48:49], v187, v187                       // 00000000BAA4: D0480030 000377BB
	v_add3_u32 v45, v187, v48, 1                               // 00000000BAAC: D1FF002D 020661BB
	v_cndmask_b32_e64 v53, v45, v47, s[48:49]                  // 00000000BAB4: D1000035 00C25F2D
	v_perm_b32 v185, v53, v52, s52                             // 00000000BABC: D1ED00B9 00D26935
	v_cmp_u_f32_e64 s[48:49], v188, v188                       // 00000000BAC4: D0480030 000379BC
	v_add3_u32 v45, v188, v48, 1                               // 00000000BACC: D1FF002D 020661BC
	v_cndmask_b32_e64 v52, v45, v47, s[48:49]                  // 00000000BAD4: D1000034 00C25F2D
	v_cmp_u_f32_e64 s[48:49], v189, v189                       // 00000000BADC: D0480030 00037BBD
	v_add3_u32 v45, v189, v48, 1                               // 00000000BAE4: D1FF002D 020661BD
	v_cndmask_b32_e64 v53, v45, v47, s[48:49]                  // 00000000BAEC: D1000035 00C25F2D
	v_perm_b32 v186, v53, v52, s52                             // 00000000BAF4: D1ED00BA 00D26935
	v_cmp_u_f32_e64 s[48:49], v190, v190                       // 00000000BAFC: D0480030 00037DBE
	v_add3_u32 v45, v190, v48, 1                               // 00000000BB04: D1FF002D 020661BE
	v_cndmask_b32_e64 v52, v45, v47, s[48:49]                  // 00000000BB0C: D1000034 00C25F2D
	v_cmp_u_f32_e64 s[48:49], v191, v191                       // 00000000BB14: D0480030 00037FBF
	v_add3_u32 v45, v191, v48, 1                               // 00000000BB1C: D1FF002D 020661BF
	v_cndmask_b32_e64 v53, v45, v47, s[48:49]                  // 00000000BB24: D1000035 00C25F2D
	v_perm_b32 v187, v53, v52, s52                             // 00000000BB2C: D1ED00BB 00D26935
	v_cmp_u_f32_e64 s[48:49], v192, v192                       // 00000000BB34: D0480030 000381C0
	v_add3_u32 v45, v192, v48, 1                               // 00000000BB3C: D1FF002D 020661C0
	v_cndmask_b32_e64 v52, v45, v47, s[48:49]                  // 00000000BB44: D1000034 00C25F2D
	v_cmp_u_f32_e64 s[48:49], v193, v193                       // 00000000BB4C: D0480030 000383C1
	v_add3_u32 v45, v193, v48, 1                               // 00000000BB54: D1FF002D 020661C1
	v_cndmask_b32_e64 v53, v45, v47, s[48:49]                  // 00000000BB5C: D1000035 00C25F2D
	v_perm_b32 v188, v53, v52, s52                             // 00000000BB64: D1ED00BC 00D26935
	v_cmp_u_f32_e64 s[48:49], v194, v194                       // 00000000BB6C: D0480030 000385C2
	v_add3_u32 v45, v194, v48, 1                               // 00000000BB74: D1FF002D 020661C2
	v_cndmask_b32_e64 v52, v45, v47, s[48:49]                  // 00000000BB7C: D1000034 00C25F2D
	v_cmp_u_f32_e64 s[48:49], v195, v195                       // 00000000BB84: D0480030 000387C3
	v_add3_u32 v45, v195, v48, 1                               // 00000000BB8C: D1FF002D 020661C3
	v_cndmask_b32_e64 v53, v45, v47, s[48:49]                  // 00000000BB94: D1000035 00C25F2D
	v_perm_b32 v189, v53, v52, s52                             // 00000000BB9C: D1ED00BD 00D26935
	v_cmp_u_f32_e64 s[48:49], v196, v196                       // 00000000BBA4: D0480030 000389C4
	v_add3_u32 v45, v196, v48, 1                               // 00000000BBAC: D1FF002D 020661C4
	v_cndmask_b32_e64 v52, v45, v47, s[48:49]                  // 00000000BBB4: D1000034 00C25F2D
	v_cmp_u_f32_e64 s[48:49], v197, v197                       // 00000000BBBC: D0480030 00038BC5
	v_add3_u32 v45, v197, v48, 1                               // 00000000BBC4: D1FF002D 020661C5
	v_cndmask_b32_e64 v53, v45, v47, s[48:49]                  // 00000000BBCC: D1000035 00C25F2D
	v_perm_b32 v190, v53, v52, s52                             // 00000000BBD4: D1ED00BE 00D26935
	v_cmp_u_f32_e64 s[48:49], v198, v198                       // 00000000BBDC: D0480030 00038DC6
	v_add3_u32 v45, v198, v48, 1                               // 00000000BBE4: D1FF002D 020661C6
	v_cndmask_b32_e64 v52, v45, v47, s[48:49]                  // 00000000BBEC: D1000034 00C25F2D
	v_cmp_u_f32_e64 s[48:49], v199, v199                       // 00000000BBF4: D0480030 00038FC7
	v_add3_u32 v45, v199, v48, 1                               // 00000000BBFC: D1FF002D 020661C7
	v_cndmask_b32_e64 v53, v45, v47, s[48:49]                  // 00000000BC04: D1000035 00C25F2D
	v_perm_b32 v191, v53, v52, s52                             // 00000000BC0C: D1ED00BF 00D26935
	v_cmp_u_f32_e64 s[48:49], v200, v200                       // 00000000BC14: D0480030 000391C8
	v_add3_u32 v45, v200, v48, 1                               // 00000000BC1C: D1FF002D 020661C8
	v_cndmask_b32_e64 v52, v45, v47, s[48:49]                  // 00000000BC24: D1000034 00C25F2D
	v_cmp_u_f32_e64 s[48:49], v201, v201                       // 00000000BC2C: D0480030 000393C9
	v_add3_u32 v45, v201, v48, 1                               // 00000000BC34: D1FF002D 020661C9
	v_cndmask_b32_e64 v53, v45, v47, s[48:49]                  // 00000000BC3C: D1000035 00C25F2D
	v_perm_b32 v192, v53, v52, s52                             // 00000000BC44: D1ED00C0 00D26935
	v_cmp_u_f32_e64 s[48:49], v202, v202                       // 00000000BC4C: D0480030 000395CA
	v_add3_u32 v45, v202, v48, 1                               // 00000000BC54: D1FF002D 020661CA
	v_cndmask_b32_e64 v52, v45, v47, s[48:49]                  // 00000000BC5C: D1000034 00C25F2D
	v_cmp_u_f32_e64 s[48:49], v203, v203                       // 00000000BC64: D0480030 000397CB
	v_add3_u32 v45, v203, v48, 1                               // 00000000BC6C: D1FF002D 020661CB
	v_cndmask_b32_e64 v53, v45, v47, s[48:49]                  // 00000000BC74: D1000035 00C25F2D
	v_perm_b32 v193, v53, v52, s52                             // 00000000BC7C: D1ED00C1 00D26935
	v_cmp_u_f32_e64 s[48:49], v204, v204                       // 00000000BC84: D0480030 000399CC
	v_add3_u32 v45, v204, v48, 1                               // 00000000BC8C: D1FF002D 020661CC
	v_cndmask_b32_e64 v52, v45, v47, s[48:49]                  // 00000000BC94: D1000034 00C25F2D
	v_cmp_u_f32_e64 s[48:49], v205, v205                       // 00000000BC9C: D0480030 00039BCD
	v_add3_u32 v45, v205, v48, 1                               // 00000000BCA4: D1FF002D 020661CD
	v_cndmask_b32_e64 v53, v45, v47, s[48:49]                  // 00000000BCAC: D1000035 00C25F2D
	v_perm_b32 v194, v53, v52, s52                             // 00000000BCB4: D1ED00C2 00D26935
	v_cmp_u_f32_e64 s[48:49], v206, v206                       // 00000000BCBC: D0480030 00039DCE
	v_add3_u32 v45, v206, v48, 1                               // 00000000BCC4: D1FF002D 020661CE
	v_cndmask_b32_e64 v52, v45, v47, s[48:49]                  // 00000000BCCC: D1000034 00C25F2D
	v_cmp_u_f32_e64 s[48:49], v207, v207                       // 00000000BCD4: D0480030 00039FCF
	v_add3_u32 v45, v207, v48, 1                               // 00000000BCDC: D1FF002D 020661CF
	v_cndmask_b32_e64 v53, v45, v47, s[48:49]                  // 00000000BCE4: D1000035 00C25F2D
	v_perm_b32 v195, v53, v52, s52                             // 00000000BCEC: D1ED00C3 00D26935
	v_cmp_u_f32_e64 s[48:49], v208, v208                       // 00000000BCF4: D0480030 0003A1D0
	v_add3_u32 v45, v208, v48, 1                               // 00000000BCFC: D1FF002D 020661D0
	v_cndmask_b32_e64 v52, v45, v47, s[48:49]                  // 00000000BD04: D1000034 00C25F2D
	v_cmp_u_f32_e64 s[48:49], v209, v209                       // 00000000BD0C: D0480030 0003A3D1
	v_add3_u32 v45, v209, v48, 1                               // 00000000BD14: D1FF002D 020661D1
	v_cndmask_b32_e64 v53, v45, v47, s[48:49]                  // 00000000BD1C: D1000035 00C25F2D
	v_perm_b32 v196, v53, v52, s52                             // 00000000BD24: D1ED00C4 00D26935
	v_cmp_u_f32_e64 s[48:49], v210, v210                       // 00000000BD2C: D0480030 0003A5D2
	v_add3_u32 v45, v210, v48, 1                               // 00000000BD34: D1FF002D 020661D2
	v_cndmask_b32_e64 v52, v45, v47, s[48:49]                  // 00000000BD3C: D1000034 00C25F2D
	v_cmp_u_f32_e64 s[48:49], v211, v211                       // 00000000BD44: D0480030 0003A7D3
	v_add3_u32 v45, v211, v48, 1                               // 00000000BD4C: D1FF002D 020661D3
	v_cndmask_b32_e64 v53, v45, v47, s[48:49]                  // 00000000BD54: D1000035 00C25F2D
	v_perm_b32 v197, v53, v52, s52                             // 00000000BD5C: D1ED00C5 00D26935
	v_cmp_u_f32_e64 s[48:49], v212, v212                       // 00000000BD64: D0480030 0003A9D4
	v_add3_u32 v45, v212, v48, 1                               // 00000000BD6C: D1FF002D 020661D4
	v_cndmask_b32_e64 v52, v45, v47, s[48:49]                  // 00000000BD74: D1000034 00C25F2D
	v_cmp_u_f32_e64 s[48:49], v213, v213                       // 00000000BD7C: D0480030 0003ABD5
	v_add3_u32 v45, v213, v48, 1                               // 00000000BD84: D1FF002D 020661D5
	v_cndmask_b32_e64 v53, v45, v47, s[48:49]                  // 00000000BD8C: D1000035 00C25F2D
	v_perm_b32 v198, v53, v52, s52                             // 00000000BD94: D1ED00C6 00D26935
	v_cmp_u_f32_e64 s[48:49], v214, v214                       // 00000000BD9C: D0480030 0003ADD6
	v_add3_u32 v45, v214, v48, 1                               // 00000000BDA4: D1FF002D 020661D6
	v_cndmask_b32_e64 v52, v45, v47, s[48:49]                  // 00000000BDAC: D1000034 00C25F2D
	v_cmp_u_f32_e64 s[48:49], v215, v215                       // 00000000BDB4: D0480030 0003AFD7
	v_add3_u32 v45, v215, v48, 1                               // 00000000BDBC: D1FF002D 020661D7
	v_cndmask_b32_e64 v53, v45, v47, s[48:49]                  // 00000000BDC4: D1000035 00C25F2D
	v_perm_b32 v199, v53, v52, s52                             // 00000000BDCC: D1ED00C7 00D26935
	ds_write_b64 v3, v[184:185] offset:33024                   // 00000000BDD4: D89A8100 0000B803
	ds_write_b64 v3, v[186:187] offset:41728                   // 00000000BDDC: D89AA300 0000BA03
	ds_write_b64 v3, v[188:189] offset:35200                   // 00000000BDE4: D89A8980 0000BC03
	ds_write_b64 v3, v[190:191] offset:43904                   // 00000000BDEC: D89AAB80 0000BE03
	ds_write_b64 v3, v[192:193] offset:37376                   // 00000000BDF4: D89A9200 0000C003
	ds_write_b64 v3, v[194:195] offset:46080                   // 00000000BDFC: D89AB400 0000C203
	ds_write_b64 v3, v[196:197] offset:39552                   // 00000000BE04: D89A9A80 0000C403
	ds_write_b64 v3, v[198:199] offset:48256                   // 00000000BE0C: D89ABC80 0000C603
	s_waitcnt lgkmcnt(0)                                       // 00000000BE14: BF8CC07F
	s_barrier                                                  // 00000000BE18: BF8A0000
	ds_read_b32 v64, v4 offset:33024                           // 00000000BE1C: D86C8100 40000004
	ds_read_b32 v65, v4 offset:37376                           // 00000000BE24: D86C9200 41000004
	ds_read_b32 v66, v4 offset:33056                           // 00000000BE2C: D86C8120 42000004
	ds_read_b32 v67, v4 offset:37408                           // 00000000BE34: D86C9220 43000004
	ds_read_b32 v68, v4 offset:33088                           // 00000000BE3C: D86C8140 44000004
	ds_read_b32 v69, v4 offset:37440                           // 00000000BE44: D86C9240 45000004
	ds_read_b32 v70, v4 offset:33120                           // 00000000BE4C: D86C8160 46000004
	ds_read_b32 v71, v4 offset:37472                           // 00000000BE54: D86C9260 47000004
	ds_read_b32 v72, v4 offset:41728                           // 00000000BE5C: D86CA300 48000004
	ds_read_b32 v73, v4 offset:46080                           // 00000000BE64: D86CB400 49000004
	ds_read_b32 v74, v4 offset:41760                           // 00000000BE6C: D86CA320 4A000004
	ds_read_b32 v75, v4 offset:46112                           // 00000000BE74: D86CB420 4B000004
	ds_read_b32 v76, v4 offset:41792                           // 00000000BE7C: D86CA340 4C000004
	ds_read_b32 v77, v4 offset:46144                           // 00000000BE84: D86CB440 4D000004
	ds_read_b32 v78, v4 offset:41824                           // 00000000BE8C: D86CA360 4E000004
	ds_read_b32 v79, v4 offset:46176                           // 00000000BE94: D86CB460 4F000004
	s_waitcnt lgkmcnt(0)                                       // 00000000BE9C: BF8CC07F
	s_mov_b64 exec, s[20:21]                                   // 00000000BEA0: BEFE0114
	global_atomic_pk_add_bf16 v80, v64, s[8:9]                 // 00000000BEA4: DD488000 00084050
	s_mov_b64 exec, s[36:37]                                   // 00000000BEAC: BEFE0124
	s_mov_b64 exec, s[20:21]                                   // 00000000BEB0: BEFE0114
	global_atomic_pk_add_bf16 v80, v65, s[8:9] offset:256      // 00000000BEB4: DD488100 00084150
	s_mov_b64 exec, s[36:37]                                   // 00000000BEBC: BEFE0124
	s_mov_b64 exec, s[22:23]                                   // 00000000BEC0: BEFE0116
	global_atomic_pk_add_bf16 v82, v66, s[8:9]                 // 00000000BEC4: DD488000 00084252
	s_mov_b64 exec, s[36:37]                                   // 00000000BECC: BEFE0124
	s_mov_b64 exec, s[22:23]                                   // 00000000BED0: BEFE0116
	global_atomic_pk_add_bf16 v82, v67, s[8:9] offset:256      // 00000000BED4: DD488100 00084352
	s_mov_b64 exec, s[36:37]                                   // 00000000BEDC: BEFE0124
	s_mov_b64 exec, s[24:25]                                   // 00000000BEE0: BEFE0118
	global_atomic_pk_add_bf16 v84, v68, s[8:9]                 // 00000000BEE4: DD488000 00084454
	s_mov_b64 exec, s[36:37]                                   // 00000000BEEC: BEFE0124
	s_mov_b64 exec, s[24:25]                                   // 00000000BEF0: BEFE0118
	global_atomic_pk_add_bf16 v84, v69, s[8:9] offset:256      // 00000000BEF4: DD488100 00084554
	s_mov_b64 exec, s[36:37]                                   // 00000000BEFC: BEFE0124
	s_mov_b64 exec, s[26:27]                                   // 00000000BF00: BEFE011A
	global_atomic_pk_add_bf16 v86, v70, s[8:9]                 // 00000000BF04: DD488000 00084656
	s_mov_b64 exec, s[36:37]                                   // 00000000BF0C: BEFE0124
	s_mov_b64 exec, s[26:27]                                   // 00000000BF10: BEFE011A
	global_atomic_pk_add_bf16 v86, v71, s[8:9] offset:256      // 00000000BF14: DD488100 00084756
	s_mov_b64 exec, s[36:37]                                   // 00000000BF1C: BEFE0124
	s_mov_b64 exec, s[28:29]                                   // 00000000BF20: BEFE011C
	global_atomic_pk_add_bf16 v88, v72, s[8:9]                 // 00000000BF24: DD488000 00084858
	s_mov_b64 exec, s[36:37]                                   // 00000000BF2C: BEFE0124
	s_mov_b64 exec, s[28:29]                                   // 00000000BF30: BEFE011C
	global_atomic_pk_add_bf16 v88, v73, s[8:9] offset:256      // 00000000BF34: DD488100 00084958
	s_mov_b64 exec, s[36:37]                                   // 00000000BF3C: BEFE0124
	s_mov_b64 exec, s[30:31]                                   // 00000000BF40: BEFE011E
	global_atomic_pk_add_bf16 v90, v74, s[8:9]                 // 00000000BF44: DD488000 00084A5A
	s_mov_b64 exec, s[36:37]                                   // 00000000BF4C: BEFE0124
	s_mov_b64 exec, s[30:31]                                   // 00000000BF50: BEFE011E
	global_atomic_pk_add_bf16 v90, v75, s[8:9] offset:256      // 00000000BF54: DD488100 00084B5A
	s_mov_b64 exec, s[36:37]                                   // 00000000BF5C: BEFE0124
	s_mov_b64 exec, s[32:33]                                   // 00000000BF60: BEFE0120
	global_atomic_pk_add_bf16 v92, v76, s[8:9]                 // 00000000BF64: DD488000 00084C5C
	s_mov_b64 exec, s[36:37]                                   // 00000000BF6C: BEFE0124
	s_mov_b64 exec, s[32:33]                                   // 00000000BF70: BEFE0120
	global_atomic_pk_add_bf16 v92, v77, s[8:9] offset:256      // 00000000BF74: DD488100 00084D5C
	s_mov_b64 exec, s[36:37]                                   // 00000000BF7C: BEFE0124
	s_mov_b64 exec, s[34:35]                                   // 00000000BF80: BEFE0122
	global_atomic_pk_add_bf16 v94, v78, s[8:9]                 // 00000000BF84: DD488000 00084E5E
	s_mov_b64 exec, s[36:37]                                   // 00000000BF8C: BEFE0124
	s_mov_b64 exec, s[34:35]                                   // 00000000BF90: BEFE0122
	global_atomic_pk_add_bf16 v94, v79, s[8:9] offset:256      // 00000000BF94: DD488100 00084F5E
	s_mov_b64 exec, s[36:37]                                   // 00000000BF9C: BEFE0124
	s_add_u32 s8, s59, s8                                      // 00000000BFA0: 8008083B
	s_addc_u32 s9, 0, s9                                       // 00000000BFA4: 82090980
	s_addk_i32 s80, 0x100                                      // 00000000BFA8: B7500100
	s_cmp_lt_i32 s80, s81                                      // 00000000BFAC: BF045150
	s_cbranch_scc0 label_152A                                  // 00000000BFB0: BF84F0BD
	s_waitcnt vmcnt(41)                                        // 00000000BFB4: BF8C8F79
	s_barrier                                                  // 00000000BFB8: BF8A0000
	v_mfma_i32_16x16x32_i8 v[216:219], a[112:113], v[128:129], 0// 00000000BFBC: D3D700D8 0A030170
	buffer_load_dwordx4 a[0:3], v41, s[12:15], 0 offen         // 00000000BFC4: E05C1000 80830029
	v_mfma_i32_16x16x32_i8 v[216:219], a[114:115], v[130:131], v[216:219]// 00000000BFCC: D3D700D8 0F630572
	v_mfma_i32_16x16x32_i8 v[220:223], a[112:113], v[156:157], 0// 00000000BFD4: D3D700DC 0A033970
	v_mfma_i32_16x16x32_i8 v[220:223], a[114:115], v[158:159], v[220:223]// 00000000BFDC: D3D700DC 0F733D72
	v_mfma_i32_16x16x32_i8 v[224:227], a[116:117], v[128:129], 0// 00000000BFE4: D3D700E0 0A030174
	buffer_load_dwordx4 a[4:7], v42, s[12:15], 0 offen         // 00000000BFEC: E05C1000 8083042A
	v_mfma_i32_16x16x32_i8 v[224:227], a[118:119], v[130:131], v[224:227]// 00000000BFF4: D3D700E0 0F830576
	v_mfma_i32_16x16x32_i8 v[228:231], a[116:117], v[156:157], 0// 00000000BFFC: D3D700E4 0A033974
	v_mfma_i32_16x16x32_i8 v[228:231], a[118:119], v[158:159], v[228:231]// 00000000C004: D3D700E4 0F933D76
	v_mfma_i32_16x16x32_i8 v[232:235], a[120:121], v[128:129], 0// 00000000C00C: D3D700E8 0A030178
	buffer_load_dwordx4 a[8:11], v43, s[12:15], 0 offen        // 00000000C014: E05C1000 8083082B
	v_mfma_i32_16x16x32_i8 v[232:235], a[122:123], v[130:131], v[232:235]// 00000000C01C: D3D700E8 0FA3057A
	v_mfma_i32_16x16x32_i8 v[236:239], a[120:121], v[156:157], 0// 00000000C024: D3D700EC 0A033978
	v_mfma_i32_16x16x32_i8 v[236:239], a[122:123], v[158:159], v[236:239]// 00000000C02C: D3D700EC 0FB33D7A
	v_mfma_i32_16x16x32_i8 v[240:243], a[124:125], v[128:129], 0// 00000000C034: D3D700F0 0A03017C
	buffer_load_dwordx4 a[12:15], v44, s[12:15], 0 offen       // 00000000C03C: E05C1000 80830C2C
	s_add_u32 s12, s78, s12                                    // 00000000C044: 800C0C4E
	s_addc_u32 s13, 0, s13                                     // 00000000C048: 820D0D80
	v_mfma_i32_16x16x32_i8 v[240:243], a[126:127], v[130:131], v[240:243]// 00000000C04C: D3D700F0 0FC3057E
	v_mfma_i32_16x16x32_i8 v[244:247], a[124:125], v[156:157], 0// 00000000C054: D3D700F4 0A03397C
	v_mfma_i32_16x16x32_i8 v[244:247], a[126:127], v[158:159], v[244:247]// 00000000C05C: D3D700F4 0FD33D7E
	s_waitcnt vmcnt(41)                                        // 00000000C064: BF8C8F79
	v_mfma_i32_16x16x32_i8 v[216:219], a[128:129], v[132:133], v[216:219]// 00000000C068: D3D700D8 0F630980
	buffer_load_dwordx4 a[16:19], v41, s[12:15], 0 offen       // 00000000C070: E05C1000 80831029
	v_mfma_i32_16x16x32_i8 v[216:219], a[130:131], v[134:135], v[216:219]// 00000000C078: D3D700D8 0F630D82
	v_mfma_i32_16x16x32_i8 v[220:223], a[128:129], v[160:161], v[220:223]// 00000000C080: D3D700DC 0F734180
	v_mfma_i32_16x16x32_i8 v[220:223], a[130:131], v[162:163], v[220:223]// 00000000C088: D3D700DC 0F734582
	v_mfma_i32_16x16x32_i8 v[224:227], a[132:133], v[132:133], v[224:227]// 00000000C090: D3D700E0 0F830984
	buffer_load_dwordx4 a[20:23], v42, s[12:15], 0 offen       // 00000000C098: E05C1000 8083142A
	v_mfma_i32_16x16x32_i8 v[224:227], a[134:135], v[134:135], v[224:227]// 00000000C0A0: D3D700E0 0F830D86
	v_mfma_i32_16x16x32_i8 v[228:231], a[132:133], v[160:161], v[228:231]// 00000000C0A8: D3D700E4 0F934184
	v_mfma_i32_16x16x32_i8 v[228:231], a[134:135], v[162:163], v[228:231]// 00000000C0B0: D3D700E4 0F934586
	v_mfma_i32_16x16x32_i8 v[232:235], a[136:137], v[132:133], v[232:235]// 00000000C0B8: D3D700E8 0FA30988
	buffer_load_dwordx4 a[24:27], v43, s[12:15], 0 offen       // 00000000C0C0: E05C1000 8083182B
	v_mfma_i32_16x16x32_i8 v[232:235], a[138:139], v[134:135], v[232:235]// 00000000C0C8: D3D700E8 0FA30D8A
	v_mfma_i32_16x16x32_i8 v[236:239], a[136:137], v[160:161], v[236:239]// 00000000C0D0: D3D700EC 0FB34188
	v_mfma_i32_16x16x32_i8 v[236:239], a[138:139], v[162:163], v[236:239]// 00000000C0D8: D3D700EC 0FB3458A
	v_mfma_i32_16x16x32_i8 v[240:243], a[140:141], v[132:133], v[240:243]// 00000000C0E0: D3D700F0 0FC3098C
	buffer_load_dwordx4 a[28:31], v44, s[12:15], 0 offen       // 00000000C0E8: E05C1000 80831C2C
	s_add_u32 s12, s78, s12                                    // 00000000C0F0: 800C0C4E
	s_addc_u32 s13, 0, s13                                     // 00000000C0F4: 820D0D80
	v_mfma_i32_16x16x32_i8 v[240:243], a[142:143], v[134:135], v[240:243]// 00000000C0F8: D3D700F0 0FC30D8E
	v_mfma_i32_16x16x32_i8 v[244:247], a[140:141], v[160:161], v[244:247]// 00000000C100: D3D700F4 0FD3418C
	v_mfma_i32_16x16x32_i8 v[244:247], a[142:143], v[162:163], v[244:247]// 00000000C108: D3D700F4 0FD3458E
	s_waitcnt vmcnt(41)                                        // 00000000C110: BF8C8F79
	v_mfma_i32_16x16x32_i8 v[216:219], a[144:145], v[136:137], v[216:219]// 00000000C114: D3D700D8 0F631190
	buffer_load_dwordx4 a[32:35], v41, s[12:15], 0 offen       // 00000000C11C: E05C1000 80832029
	v_mfma_i32_16x16x32_i8 v[216:219], a[146:147], v[138:139], v[216:219]// 00000000C124: D3D700D8 0F631592
	v_mfma_i32_16x16x32_i8 v[220:223], a[144:145], v[164:165], v[220:223]// 00000000C12C: D3D700DC 0F734990
	v_mfma_i32_16x16x32_i8 v[220:223], a[146:147], v[166:167], v[220:223]// 00000000C134: D3D700DC 0F734D92
	v_mfma_i32_16x16x32_i8 v[224:227], a[148:149], v[136:137], v[224:227]// 00000000C13C: D3D700E0 0F831194
	buffer_load_dwordx4 a[36:39], v42, s[12:15], 0 offen       // 00000000C144: E05C1000 8083242A
	v_mfma_i32_16x16x32_i8 v[224:227], a[150:151], v[138:139], v[224:227]// 00000000C14C: D3D700E0 0F831596
	v_mfma_i32_16x16x32_i8 v[228:231], a[148:149], v[164:165], v[228:231]// 00000000C154: D3D700E4 0F934994
	v_mfma_i32_16x16x32_i8 v[228:231], a[150:151], v[166:167], v[228:231]// 00000000C15C: D3D700E4 0F934D96
	v_mfma_i32_16x16x32_i8 v[232:235], a[152:153], v[136:137], v[232:235]// 00000000C164: D3D700E8 0FA31198
	buffer_load_dwordx4 a[40:43], v43, s[12:15], 0 offen       // 00000000C16C: E05C1000 8083282B
	v_mfma_i32_16x16x32_i8 v[232:235], a[154:155], v[138:139], v[232:235]// 00000000C174: D3D700E8 0FA3159A
	v_mfma_i32_16x16x32_i8 v[236:239], a[152:153], v[164:165], v[236:239]// 00000000C17C: D3D700EC 0FB34998
	v_mfma_i32_16x16x32_i8 v[236:239], a[154:155], v[166:167], v[236:239]// 00000000C184: D3D700EC 0FB34D9A
	v_mfma_i32_16x16x32_i8 v[240:243], a[156:157], v[136:137], v[240:243]// 00000000C18C: D3D700F0 0FC3119C
	buffer_load_dwordx4 a[44:47], v44, s[12:15], 0 offen       // 00000000C194: E05C1000 80832C2C
	s_add_u32 s12, s78, s12                                    // 00000000C19C: 800C0C4E
	s_addc_u32 s13, 0, s13                                     // 00000000C1A0: 820D0D80
	v_mfma_i32_16x16x32_i8 v[240:243], a[158:159], v[138:139], v[240:243]// 00000000C1A4: D3D700F0 0FC3159E
	v_mfma_i32_16x16x32_i8 v[244:247], a[156:157], v[164:165], v[244:247]// 00000000C1AC: D3D700F4 0FD3499C
	v_mfma_i32_16x16x32_i8 v[244:247], a[158:159], v[166:167], v[244:247]// 00000000C1B4: D3D700F4 0FD34D9E
	s_waitcnt vmcnt(41)                                        // 00000000C1BC: BF8C8F79
	v_mfma_i32_16x16x32_i8 v[216:219], a[160:161], v[140:141], v[216:219]// 00000000C1C0: D3D700D8 0F6319A0
	buffer_load_dwordx4 a[48:51], v41, s[12:15], 0 offen       // 00000000C1C8: E05C1000 80833029
	v_mfma_i32_16x16x32_i8 v[216:219], a[162:163], v[142:143], v[216:219]// 00000000C1D0: D3D700D8 0F631DA2
	v_mfma_i32_16x16x32_i8 v[220:223], a[160:161], v[168:169], v[220:223]// 00000000C1D8: D3D700DC 0F7351A0
	v_mfma_i32_16x16x32_i8 v[220:223], a[162:163], v[170:171], v[220:223]// 00000000C1E0: D3D700DC 0F7355A2
	v_mfma_i32_16x16x32_i8 v[224:227], a[164:165], v[140:141], v[224:227]// 00000000C1E8: D3D700E0 0F8319A4
	buffer_load_dwordx4 a[52:55], v42, s[12:15], 0 offen       // 00000000C1F0: E05C1000 8083342A
	v_mfma_i32_16x16x32_i8 v[224:227], a[166:167], v[142:143], v[224:227]// 00000000C1F8: D3D700E0 0F831DA6
	v_mfma_i32_16x16x32_i8 v[228:231], a[164:165], v[168:169], v[228:231]// 00000000C200: D3D700E4 0F9351A4
	v_mfma_i32_16x16x32_i8 v[228:231], a[166:167], v[170:171], v[228:231]// 00000000C208: D3D700E4 0F9355A6
	v_mfma_i32_16x16x32_i8 v[232:235], a[168:169], v[140:141], v[232:235]// 00000000C210: D3D700E8 0FA319A8
	buffer_load_dwordx4 a[56:59], v43, s[12:15], 0 offen       // 00000000C218: E05C1000 8083382B
	v_mfma_i32_16x16x32_i8 v[232:235], a[170:171], v[142:143], v[232:235]// 00000000C220: D3D700E8 0FA31DAA
	v_mfma_i32_16x16x32_i8 v[236:239], a[168:169], v[168:169], v[236:239]// 00000000C228: D3D700EC 0FB351A8
	v_mfma_i32_16x16x32_i8 v[236:239], a[170:171], v[170:171], v[236:239]// 00000000C230: D3D700EC 0FB355AA
	v_mfma_i32_16x16x32_i8 v[240:243], a[172:173], v[140:141], v[240:243]// 00000000C238: D3D700F0 0FC319AC
	buffer_load_dwordx4 a[60:63], v44, s[12:15], 0 offen       // 00000000C240: E05C1000 80833C2C
	s_add_u32 s12, s78, s12                                    // 00000000C248: 800C0C4E
	s_addc_u32 s13, 0, s13                                     // 00000000C24C: 820D0D80
	v_mfma_i32_16x16x32_i8 v[240:243], a[174:175], v[142:143], v[240:243]// 00000000C250: D3D700F0 0FC31DAE
	v_mfma_i32_16x16x32_i8 v[244:247], a[172:173], v[168:169], v[244:247]// 00000000C258: D3D700F4 0FD351AC
	v_mfma_i32_16x16x32_i8 v[244:247], a[174:175], v[170:171], v[244:247]// 00000000C260: D3D700F4 0FD355AE
	s_waitcnt vmcnt(41)                                        // 00000000C268: BF8C8F79
	v_mfma_i32_16x16x32_i8 v[216:219], a[176:177], v[144:145], v[216:219]// 00000000C26C: D3D700D8 0F6321B0
	buffer_load_dwordx4 a[64:67], v41, s[12:15], 0 offen       // 00000000C274: E05C1000 80834029
	v_mfma_i32_16x16x32_i8 v[216:219], a[178:179], v[146:147], v[216:219]// 00000000C27C: D3D700D8 0F6325B2
	v_mfma_i32_16x16x32_i8 v[220:223], a[176:177], v[172:173], v[220:223]// 00000000C284: D3D700DC 0F7359B0
	v_mfma_i32_16x16x32_i8 v[220:223], a[178:179], v[174:175], v[220:223]// 00000000C28C: D3D700DC 0F735DB2
	v_mfma_i32_16x16x32_i8 v[224:227], a[180:181], v[144:145], v[224:227]// 00000000C294: D3D700E0 0F8321B4
	buffer_load_dwordx4 a[68:71], v42, s[12:15], 0 offen       // 00000000C29C: E05C1000 8083442A
	v_mfma_i32_16x16x32_i8 v[224:227], a[182:183], v[146:147], v[224:227]// 00000000C2A4: D3D700E0 0F8325B6
	v_mfma_i32_16x16x32_i8 v[228:231], a[180:181], v[172:173], v[228:231]// 00000000C2AC: D3D700E4 0F9359B4
	v_mfma_i32_16x16x32_i8 v[228:231], a[182:183], v[174:175], v[228:231]// 00000000C2B4: D3D700E4 0F935DB6
	v_mfma_i32_16x16x32_i8 v[232:235], a[184:185], v[144:145], v[232:235]// 00000000C2BC: D3D700E8 0FA321B8
	buffer_load_dwordx4 a[72:75], v43, s[12:15], 0 offen       // 00000000C2C4: E05C1000 8083482B
	v_mfma_i32_16x16x32_i8 v[232:235], a[186:187], v[146:147], v[232:235]// 00000000C2CC: D3D700E8 0FA325BA
	v_mfma_i32_16x16x32_i8 v[236:239], a[184:185], v[172:173], v[236:239]// 00000000C2D4: D3D700EC 0FB359B8
	v_mfma_i32_16x16x32_i8 v[236:239], a[186:187], v[174:175], v[236:239]// 00000000C2DC: D3D700EC 0FB35DBA
	v_mfma_i32_16x16x32_i8 v[240:243], a[188:189], v[144:145], v[240:243]// 00000000C2E4: D3D700F0 0FC321BC
	buffer_load_dwordx4 a[76:79], v44, s[12:15], 0 offen       // 00000000C2EC: E05C1000 80834C2C
	s_add_u32 s12, s78, s12                                    // 00000000C2F4: 800C0C4E
	s_addc_u32 s13, 0, s13                                     // 00000000C2F8: 820D0D80
	v_mfma_i32_16x16x32_i8 v[240:243], a[190:191], v[146:147], v[240:243]// 00000000C2FC: D3D700F0 0FC325BE
	v_mfma_i32_16x16x32_i8 v[244:247], a[188:189], v[172:173], v[244:247]// 00000000C304: D3D700F4 0FD359BC
	v_mfma_i32_16x16x32_i8 v[244:247], a[190:191], v[174:175], v[244:247]// 00000000C30C: D3D700F4 0FD35DBE
	s_waitcnt vmcnt(41)                                        // 00000000C314: BF8C8F79
	v_mfma_i32_16x16x32_i8 v[216:219], a[192:193], v[148:149], v[216:219]// 00000000C318: D3D700D8 0F6329C0
	buffer_load_dwordx4 a[80:83], v41, s[12:15], 0 offen       // 00000000C320: E05C1000 80835029
	v_mfma_i32_16x16x32_i8 v[216:219], a[194:195], v[150:151], v[216:219]// 00000000C328: D3D700D8 0F632DC2
	v_mfma_i32_16x16x32_i8 v[220:223], a[192:193], v[176:177], v[220:223]// 00000000C330: D3D700DC 0F7361C0
	v_mfma_i32_16x16x32_i8 v[220:223], a[194:195], v[178:179], v[220:223]// 00000000C338: D3D700DC 0F7365C2
	v_mfma_i32_16x16x32_i8 v[224:227], a[196:197], v[148:149], v[224:227]// 00000000C340: D3D700E0 0F8329C4
	buffer_load_dwordx4 a[84:87], v42, s[12:15], 0 offen       // 00000000C348: E05C1000 8083542A
	v_mfma_i32_16x16x32_i8 v[224:227], a[198:199], v[150:151], v[224:227]// 00000000C350: D3D700E0 0F832DC6
	v_mfma_i32_16x16x32_i8 v[228:231], a[196:197], v[176:177], v[228:231]// 00000000C358: D3D700E4 0F9361C4
	v_mfma_i32_16x16x32_i8 v[228:231], a[198:199], v[178:179], v[228:231]// 00000000C360: D3D700E4 0F9365C6
	v_mfma_i32_16x16x32_i8 v[232:235], a[200:201], v[148:149], v[232:235]// 00000000C368: D3D700E8 0FA329C8
	buffer_load_dwordx4 a[88:91], v43, s[12:15], 0 offen       // 00000000C370: E05C1000 8083582B
	v_mfma_i32_16x16x32_i8 v[232:235], a[202:203], v[150:151], v[232:235]// 00000000C378: D3D700E8 0FA32DCA
	v_mfma_i32_16x16x32_i8 v[236:239], a[200:201], v[176:177], v[236:239]// 00000000C380: D3D700EC 0FB361C8
	v_mfma_i32_16x16x32_i8 v[236:239], a[202:203], v[178:179], v[236:239]// 00000000C388: D3D700EC 0FB365CA
	v_mfma_i32_16x16x32_i8 v[240:243], a[204:205], v[148:149], v[240:243]// 00000000C390: D3D700F0 0FC329CC
	buffer_load_dwordx4 a[92:95], v44, s[12:15], 0 offen       // 00000000C398: E05C1000 80835C2C
	s_add_u32 s12, s78, s12                                    // 00000000C3A0: 800C0C4E
	s_addc_u32 s13, 0, s13                                     // 00000000C3A4: 820D0D80
	v_mfma_i32_16x16x32_i8 v[240:243], a[206:207], v[150:151], v[240:243]// 00000000C3A8: D3D700F0 0FC32DCE
	v_mfma_i32_16x16x32_i8 v[244:247], a[204:205], v[176:177], v[244:247]// 00000000C3B0: D3D700F4 0FD361CC
	v_mfma_i32_16x16x32_i8 v[244:247], a[206:207], v[178:179], v[244:247]// 00000000C3B8: D3D700F4 0FD365CE
	s_waitcnt vmcnt(40)                                        // 00000000C3C0: BF8C8F78
	v_mfma_i32_16x16x32_i8 v[216:219], a[208:209], v[152:153], v[216:219]// 00000000C3C4: D3D700D8 0F6331D0
	buffer_load_dwordx4 a[96:99], v41, s[12:15], 0 offen       // 00000000C3CC: E05C1000 80836029
	v_mfma_i32_16x16x32_i8 v[216:219], a[210:211], v[154:155], v[216:219]// 00000000C3D4: D3D700D8 0F6335D2
	v_mfma_i32_16x16x32_i8 v[220:223], a[208:209], v[180:181], v[220:223]// 00000000C3DC: D3D700DC 0F7369D0
	buffer_load_dword v12, v5, s[16:19], 0 offen               // 00000000C3E4: E0501000 80040C05
	v_mfma_i32_16x16x32_i8 v[220:223], a[210:211], v[182:183], v[220:223]// 00000000C3EC: D3D700DC 0F736DD2
	v_mfma_i32_16x16x32_i8 v[224:227], a[212:213], v[152:153], v[224:227]// 00000000C3F4: D3D700E0 0F8331D4
	buffer_load_dwordx4 a[100:103], v42, s[12:15], 0 offen     // 00000000C3FC: E05C1000 8083642A
	v_mfma_i32_16x16x32_i8 v[224:227], a[214:215], v[154:155], v[224:227]// 00000000C404: D3D700E0 0F8335D6
	v_mfma_i32_16x16x32_i8 v[228:231], a[212:213], v[180:181], v[228:231]// 00000000C40C: D3D700E4 0F9369D4
	v_mfma_i32_16x16x32_i8 v[228:231], a[214:215], v[182:183], v[228:231]// 00000000C414: D3D700E4 0F936DD6
	v_mfma_i32_16x16x32_i8 v[232:235], a[216:217], v[152:153], v[232:235]// 00000000C41C: D3D700E8 0FA331D8
	buffer_load_dwordx4 a[104:107], v43, s[12:15], 0 offen     // 00000000C424: E05C1000 8083682B
	v_mfma_i32_16x16x32_i8 v[232:235], a[218:219], v[154:155], v[232:235]// 00000000C42C: D3D700E8 0FA335DA
	v_mfma_i32_16x16x32_i8 v[236:239], a[216:217], v[180:181], v[236:239]// 00000000C434: D3D700EC 0FB369D8
	v_mfma_i32_16x16x32_i8 v[236:239], a[218:219], v[182:183], v[236:239]// 00000000C43C: D3D700EC 0FB36DDA
	v_mfma_i32_16x16x32_i8 v[240:243], a[220:221], v[152:153], v[240:243]// 00000000C444: D3D700F0 0FC331DC
	buffer_load_dwordx4 a[108:111], v44, s[12:15], 0 offen     // 00000000C44C: E05C1000 80836C2C
	v_mfma_i32_16x16x32_i8 v[240:243], a[222:223], v[154:155], v[240:243]// 00000000C454: D3D700F0 0FC335DE
	v_mfma_i32_16x16x32_i8 v[244:247], a[220:221], v[180:181], v[244:247]// 00000000C45C: D3D700F4 0FD369DC
	v_mfma_i32_16x16x32_i8 v[244:247], a[222:223], v[182:183], v[244:247]// 00000000C464: D3D700F4 0FD36DDE
	s_add_u32 s60, 0x200, s80                                  // 00000000C46C: 803C50FF 00000200
	s_cmp_lt_u32 s60, s81                                      // 00000000C474: BF0A513C
	s_cselect_b32 s56, s56, 0                                  // 00000000C478: 85388038
	s_cselect_b32 s78, s78, 0                                  // 00000000C47C: 854E804E
	s_cselect_b32 s79, s79, 0                                  // 00000000C480: 854F804F
	s_add_u32 s12, s56, s12                                    // 00000000C484: 800C0C38
	s_addc_u32 s13, 0, s13                                     // 00000000C488: 820D0D80
	s_add_u32 s16, s79, s16                                    // 00000000C48C: 8010104F
	s_addc_u32 s17, 0, s17                                     // 00000000C490: 82111180
	v_cvt_f32_i32_e32 v216, v216                               // 00000000C494: 7FB00BD8
	v_cvt_f32_i32_e32 v217, v217                               // 00000000C498: 7FB20BD9
	v_cvt_f32_i32_e32 v218, v218                               // 00000000C49C: 7FB40BDA
	v_cvt_f32_i32_e32 v219, v219                               // 00000000C4A0: 7FB60BDB
	v_mul_f32_e32 v216, v24, v216                              // 00000000C4A4: 0BB1B118
	v_mul_f32_e32 v217, v24, v217                              // 00000000C4A8: 0BB3B318
	v_mul_f32_e32 v218, v24, v218                              // 00000000C4AC: 0BB5B518
	v_mul_f32_e32 v219, v24, v219                              // 00000000C4B0: 0BB7B718
	v_mul_f32_dpp v216, v13, v216 row_newbcast:0 row_mask:0xf bank_mask:0xf// 00000000C4B4: 0BB1B0FA FF01500D
	v_mul_f32_dpp v217, v13, v217 row_newbcast:1 row_mask:0xf bank_mask:0xf// 00000000C4BC: 0BB3B2FA FF01510D
	v_mul_f32_dpp v218, v13, v218 row_newbcast:2 row_mask:0xf bank_mask:0xf// 00000000C4C4: 0BB5B4FA FF01520D
	v_mul_f32_dpp v219, v13, v219 row_newbcast:3 row_mask:0xf bank_mask:0xf// 00000000C4CC: 0BB7B6FA FF01530D
	v_mul_f32_e32 v216, v20, v216                              // 00000000C4D4: 0BB1B114
	v_mul_f32_e32 v217, v20, v217                              // 00000000C4D8: 0BB3B314
	v_mul_f32_e32 v218, v20, v218                              // 00000000C4DC: 0BB5B514
	v_mul_f32_e32 v219, v20, v219                              // 00000000C4E0: 0BB7B714
	v_cvt_f32_i32_e32 v220, v220                               // 00000000C4E4: 7FB80BDC
	v_cvt_f32_i32_e32 v221, v221                               // 00000000C4E8: 7FBA0BDD
	v_cvt_f32_i32_e32 v222, v222                               // 00000000C4EC: 7FBC0BDE
	v_cvt_f32_i32_e32 v223, v223                               // 00000000C4F0: 7FBE0BDF
	v_mul_f32_e32 v220, v25, v220                              // 00000000C4F4: 0BB9B919
	v_mul_f32_e32 v221, v25, v221                              // 00000000C4F8: 0BBBBB19
	v_mul_f32_e32 v222, v25, v222                              // 00000000C4FC: 0BBDBD19
	v_mul_f32_e32 v223, v25, v223                              // 00000000C500: 0BBFBF19
	v_mul_f32_dpp v220, v13, v220 row_newbcast:0 row_mask:0xf bank_mask:0xf// 00000000C504: 0BB9B8FA FF01500D
	v_mul_f32_dpp v221, v13, v221 row_newbcast:1 row_mask:0xf bank_mask:0xf// 00000000C50C: 0BBBBAFA FF01510D
	v_mul_f32_dpp v222, v13, v222 row_newbcast:2 row_mask:0xf bank_mask:0xf// 00000000C514: 0BBDBCFA FF01520D
	v_mul_f32_dpp v223, v13, v223 row_newbcast:3 row_mask:0xf bank_mask:0xf// 00000000C51C: 0BBFBEFA FF01530D
	v_mul_f32_e32 v220, v21, v220                              // 00000000C524: 0BB9B915
	v_mul_f32_e32 v221, v21, v221                              // 00000000C528: 0BBBBB15
	v_mul_f32_e32 v222, v21, v222                              // 00000000C52C: 0BBDBD15
	v_mul_f32_e32 v223, v21, v223                              // 00000000C530: 0BBFBF15
	v_cvt_f32_i32_e32 v224, v224                               // 00000000C534: 7FC00BE0
	v_cvt_f32_i32_e32 v225, v225                               // 00000000C538: 7FC20BE1
	v_cvt_f32_i32_e32 v226, v226                               // 00000000C53C: 7FC40BE2
	v_cvt_f32_i32_e32 v227, v227                               // 00000000C540: 7FC60BE3
	v_mul_f32_e32 v224, v24, v224                              // 00000000C544: 0BC1C118
	v_mul_f32_e32 v225, v24, v225                              // 00000000C548: 0BC3C318
	v_mul_f32_e32 v226, v24, v226                              // 00000000C54C: 0BC5C518
	v_mul_f32_e32 v227, v24, v227                              // 00000000C550: 0BC7C718
	v_mul_f32_dpp v224, v13, v224 row_newbcast:4 row_mask:0xf bank_mask:0xf// 00000000C554: 0BC1C0FA FF01540D
	v_mul_f32_dpp v225, v13, v225 row_newbcast:5 row_mask:0xf bank_mask:0xf// 00000000C55C: 0BC3C2FA FF01550D
	v_mul_f32_dpp v226, v13, v226 row_newbcast:6 row_mask:0xf bank_mask:0xf// 00000000C564: 0BC5C4FA FF01560D
	v_mul_f32_dpp v227, v13, v227 row_newbcast:7 row_mask:0xf bank_mask:0xf// 00000000C56C: 0BC7C6FA FF01570D
	v_mul_f32_e32 v224, v20, v224                              // 00000000C574: 0BC1C114
	v_mul_f32_e32 v225, v20, v225                              // 00000000C578: 0BC3C314
	v_mul_f32_e32 v226, v20, v226                              // 00000000C57C: 0BC5C514
	v_mul_f32_e32 v227, v20, v227                              // 00000000C580: 0BC7C714
	v_cvt_f32_i32_e32 v228, v228                               // 00000000C584: 7FC80BE4
	v_cvt_f32_i32_e32 v229, v229                               // 00000000C588: 7FCA0BE5
	v_cvt_f32_i32_e32 v230, v230                               // 00000000C58C: 7FCC0BE6
	v_cvt_f32_i32_e32 v231, v231                               // 00000000C590: 7FCE0BE7
	v_mul_f32_e32 v228, v25, v228                              // 00000000C594: 0BC9C919
	v_mul_f32_e32 v229, v25, v229                              // 00000000C598: 0BCBCB19
	v_mul_f32_e32 v230, v25, v230                              // 00000000C59C: 0BCDCD19
	v_mul_f32_e32 v231, v25, v231                              // 00000000C5A0: 0BCFCF19
	v_mul_f32_dpp v228, v13, v228 row_newbcast:4 row_mask:0xf bank_mask:0xf// 00000000C5A4: 0BC9C8FA FF01540D
	v_mul_f32_dpp v229, v13, v229 row_newbcast:5 row_mask:0xf bank_mask:0xf// 00000000C5AC: 0BCBCAFA FF01550D
	v_mul_f32_dpp v230, v13, v230 row_newbcast:6 row_mask:0xf bank_mask:0xf// 00000000C5B4: 0BCDCCFA FF01560D
	v_mul_f32_dpp v231, v13, v231 row_newbcast:7 row_mask:0xf bank_mask:0xf// 00000000C5BC: 0BCFCEFA FF01570D
	v_mul_f32_e32 v228, v21, v228                              // 00000000C5C4: 0BC9C915
	v_mul_f32_e32 v229, v21, v229                              // 00000000C5C8: 0BCBCB15
	v_mul_f32_e32 v230, v21, v230                              // 00000000C5CC: 0BCDCD15
	v_mul_f32_e32 v231, v21, v231                              // 00000000C5D0: 0BCFCF15
	v_cvt_f32_i32_e32 v232, v232                               // 00000000C5D4: 7FD00BE8
	v_cvt_f32_i32_e32 v233, v233                               // 00000000C5D8: 7FD20BE9
	v_cvt_f32_i32_e32 v234, v234                               // 00000000C5DC: 7FD40BEA
	v_cvt_f32_i32_e32 v235, v235                               // 00000000C5E0: 7FD60BEB
	v_mul_f32_e32 v232, v24, v232                              // 00000000C5E4: 0BD1D118
	v_mul_f32_e32 v233, v24, v233                              // 00000000C5E8: 0BD3D318
	v_mul_f32_e32 v234, v24, v234                              // 00000000C5EC: 0BD5D518
	v_mul_f32_e32 v235, v24, v235                              // 00000000C5F0: 0BD7D718
	v_mul_f32_dpp v232, v13, v232 row_newbcast:8 row_mask:0xf bank_mask:0xf// 00000000C5F4: 0BD1D0FA FF01580D
	v_mul_f32_dpp v233, v13, v233 row_newbcast:9 row_mask:0xf bank_mask:0xf// 00000000C5FC: 0BD3D2FA FF01590D
	v_mul_f32_dpp v234, v13, v234 row_newbcast:10 row_mask:0xf bank_mask:0xf// 00000000C604: 0BD5D4FA FF015A0D
	v_mul_f32_dpp v235, v13, v235 row_newbcast:11 row_mask:0xf bank_mask:0xf// 00000000C60C: 0BD7D6FA FF015B0D
	v_mul_f32_e32 v232, v20, v232                              // 00000000C614: 0BD1D114
	v_mul_f32_e32 v233, v20, v233                              // 00000000C618: 0BD3D314
	v_mul_f32_e32 v234, v20, v234                              // 00000000C61C: 0BD5D514
	v_mul_f32_e32 v235, v20, v235                              // 00000000C620: 0BD7D714
	v_cvt_f32_i32_e32 v236, v236                               // 00000000C624: 7FD80BEC
	v_cvt_f32_i32_e32 v237, v237                               // 00000000C628: 7FDA0BED
	v_cvt_f32_i32_e32 v238, v238                               // 00000000C62C: 7FDC0BEE
	v_cvt_f32_i32_e32 v239, v239                               // 00000000C630: 7FDE0BEF
	v_mul_f32_e32 v236, v25, v236                              // 00000000C634: 0BD9D919
	v_mul_f32_e32 v237, v25, v237                              // 00000000C638: 0BDBDB19
	v_mul_f32_e32 v238, v25, v238                              // 00000000C63C: 0BDDDD19
	v_mul_f32_e32 v239, v25, v239                              // 00000000C640: 0BDFDF19
	v_mul_f32_dpp v236, v13, v236 row_newbcast:8 row_mask:0xf bank_mask:0xf// 00000000C644: 0BD9D8FA FF01580D
	v_mul_f32_dpp v237, v13, v237 row_newbcast:9 row_mask:0xf bank_mask:0xf// 00000000C64C: 0BDBDAFA FF01590D
	v_mul_f32_dpp v238, v13, v238 row_newbcast:10 row_mask:0xf bank_mask:0xf// 00000000C654: 0BDDDCFA FF015A0D
	v_mul_f32_dpp v239, v13, v239 row_newbcast:11 row_mask:0xf bank_mask:0xf// 00000000C65C: 0BDFDEFA FF015B0D
	v_mul_f32_e32 v236, v21, v236                              // 00000000C664: 0BD9D915
	v_mul_f32_e32 v237, v21, v237                              // 00000000C668: 0BDBDB15
	v_mul_f32_e32 v238, v21, v238                              // 00000000C66C: 0BDDDD15
	v_mul_f32_e32 v239, v21, v239                              // 00000000C670: 0BDFDF15
	v_cvt_f32_i32_e32 v240, v240                               // 00000000C674: 7FE00BF0
	v_cvt_f32_i32_e32 v241, v241                               // 00000000C678: 7FE20BF1
	v_cvt_f32_i32_e32 v242, v242                               // 00000000C67C: 7FE40BF2
	v_cvt_f32_i32_e32 v243, v243                               // 00000000C680: 7FE60BF3
	v_mul_f32_e32 v240, v24, v240                              // 00000000C684: 0BE1E118
	v_mul_f32_e32 v241, v24, v241                              // 00000000C688: 0BE3E318
	v_mul_f32_e32 v242, v24, v242                              // 00000000C68C: 0BE5E518
	v_mul_f32_e32 v243, v24, v243                              // 00000000C690: 0BE7E718
	v_mul_f32_dpp v240, v13, v240 row_newbcast:12 row_mask:0xf bank_mask:0xf// 00000000C694: 0BE1E0FA FF015C0D
	v_mul_f32_dpp v241, v13, v241 row_newbcast:13 row_mask:0xf bank_mask:0xf// 00000000C69C: 0BE3E2FA FF015D0D
	v_mul_f32_dpp v242, v13, v242 row_newbcast:14 row_mask:0xf bank_mask:0xf// 00000000C6A4: 0BE5E4FA FF015E0D
	v_mul_f32_dpp v243, v13, v243 row_newbcast:15 row_mask:0xf bank_mask:0xf// 00000000C6AC: 0BE7E6FA FF015F0D
	v_mul_f32_e32 v240, v20, v240                              // 00000000C6B4: 0BE1E114
	v_mul_f32_e32 v241, v20, v241                              // 00000000C6B8: 0BE3E314
	v_mul_f32_e32 v242, v20, v242                              // 00000000C6BC: 0BE5E514
	v_mul_f32_e32 v243, v20, v243                              // 00000000C6C0: 0BE7E714
	v_cvt_f32_i32_e32 v244, v244                               // 00000000C6C4: 7FE80BF4
	v_cvt_f32_i32_e32 v245, v245                               // 00000000C6C8: 7FEA0BF5
	v_cvt_f32_i32_e32 v246, v246                               // 00000000C6CC: 7FEC0BF6
	v_cvt_f32_i32_e32 v247, v247                               // 00000000C6D0: 7FEE0BF7
	v_mul_f32_e32 v244, v25, v244                              // 00000000C6D4: 0BE9E919
	v_mul_f32_e32 v245, v25, v245                              // 00000000C6D8: 0BEBEB19
	v_mul_f32_e32 v246, v25, v246                              // 00000000C6DC: 0BEDED19
	v_mul_f32_e32 v247, v25, v247                              // 00000000C6E0: 0BEFEF19
	v_mul_f32_dpp v244, v13, v244 row_newbcast:12 row_mask:0xf bank_mask:0xf// 00000000C6E4: 0BE9E8FA FF015C0D
	v_mul_f32_dpp v245, v13, v245 row_newbcast:13 row_mask:0xf bank_mask:0xf// 00000000C6EC: 0BEBEAFA FF015D0D
	v_mul_f32_dpp v246, v13, v246 row_newbcast:14 row_mask:0xf bank_mask:0xf// 00000000C6F4: 0BEDECFA FF015E0D
	v_mul_f32_dpp v247, v13, v247 row_newbcast:15 row_mask:0xf bank_mask:0xf// 00000000C6FC: 0BEFEEFA FF015F0D
	v_mul_f32_e32 v244, v21, v244                              // 00000000C704: 0BE9E915
	v_mul_f32_e32 v245, v21, v245                              // 00000000C708: 0BEBEB15
	v_mul_f32_e32 v246, v21, v246                              // 00000000C70C: 0BEDED15
	v_mul_f32_e32 v247, v21, v247                              // 00000000C710: 0BEFEF15
	v_cmp_u_f32_e64 s[48:49], v216, v216                       // 00000000C714: D0480030 0003B1D8
	v_add3_u32 v45, v216, v48, 1                               // 00000000C71C: D1FF002D 020661D8
	v_cndmask_b32_e64 v52, v45, v47, s[48:49]                  // 00000000C724: D1000034 00C25F2D
	v_cmp_u_f32_e64 s[48:49], v217, v217                       // 00000000C72C: D0480030 0003B3D9
	v_add3_u32 v45, v217, v48, 1                               // 00000000C734: D1FF002D 020661D9
	v_cndmask_b32_e64 v53, v45, v47, s[48:49]                  // 00000000C73C: D1000035 00C25F2D
	v_perm_b32 v216, v53, v52, s52                             // 00000000C744: D1ED00D8 00D26935
	v_cmp_u_f32_e64 s[48:49], v218, v218                       // 00000000C74C: D0480030 0003B5DA
	v_add3_u32 v45, v218, v48, 1                               // 00000000C754: D1FF002D 020661DA
	v_cndmask_b32_e64 v52, v45, v47, s[48:49]                  // 00000000C75C: D1000034 00C25F2D
	v_cmp_u_f32_e64 s[48:49], v219, v219                       // 00000000C764: D0480030 0003B7DB
	v_add3_u32 v45, v219, v48, 1                               // 00000000C76C: D1FF002D 020661DB
	v_cndmask_b32_e64 v53, v45, v47, s[48:49]                  // 00000000C774: D1000035 00C25F2D
	v_perm_b32 v217, v53, v52, s52                             // 00000000C77C: D1ED00D9 00D26935
	v_cmp_u_f32_e64 s[48:49], v220, v220                       // 00000000C784: D0480030 0003B9DC
	v_add3_u32 v45, v220, v48, 1                               // 00000000C78C: D1FF002D 020661DC
	v_cndmask_b32_e64 v52, v45, v47, s[48:49]                  // 00000000C794: D1000034 00C25F2D
	v_cmp_u_f32_e64 s[48:49], v221, v221                       // 00000000C79C: D0480030 0003BBDD
	v_add3_u32 v45, v221, v48, 1                               // 00000000C7A4: D1FF002D 020661DD
	v_cndmask_b32_e64 v53, v45, v47, s[48:49]                  // 00000000C7AC: D1000035 00C25F2D
	v_perm_b32 v218, v53, v52, s52                             // 00000000C7B4: D1ED00DA 00D26935
	v_cmp_u_f32_e64 s[48:49], v222, v222                       // 00000000C7BC: D0480030 0003BDDE
	v_add3_u32 v45, v222, v48, 1                               // 00000000C7C4: D1FF002D 020661DE
	v_cndmask_b32_e64 v52, v45, v47, s[48:49]                  // 00000000C7CC: D1000034 00C25F2D
	v_cmp_u_f32_e64 s[48:49], v223, v223                       // 00000000C7D4: D0480030 0003BFDF
	v_add3_u32 v45, v223, v48, 1                               // 00000000C7DC: D1FF002D 020661DF
	v_cndmask_b32_e64 v53, v45, v47, s[48:49]                  // 00000000C7E4: D1000035 00C25F2D
	v_perm_b32 v219, v53, v52, s52                             // 00000000C7EC: D1ED00DB 00D26935
	v_cmp_u_f32_e64 s[48:49], v224, v224                       // 00000000C7F4: D0480030 0003C1E0
	v_add3_u32 v45, v224, v48, 1                               // 00000000C7FC: D1FF002D 020661E0
	v_cndmask_b32_e64 v52, v45, v47, s[48:49]                  // 00000000C804: D1000034 00C25F2D
	v_cmp_u_f32_e64 s[48:49], v225, v225                       // 00000000C80C: D0480030 0003C3E1
	v_add3_u32 v45, v225, v48, 1                               // 00000000C814: D1FF002D 020661E1
	v_cndmask_b32_e64 v53, v45, v47, s[48:49]                  // 00000000C81C: D1000035 00C25F2D
	v_perm_b32 v220, v53, v52, s52                             // 00000000C824: D1ED00DC 00D26935
	v_cmp_u_f32_e64 s[48:49], v226, v226                       // 00000000C82C: D0480030 0003C5E2
	v_add3_u32 v45, v226, v48, 1                               // 00000000C834: D1FF002D 020661E2
	v_cndmask_b32_e64 v52, v45, v47, s[48:49]                  // 00000000C83C: D1000034 00C25F2D
	v_cmp_u_f32_e64 s[48:49], v227, v227                       // 00000000C844: D0480030 0003C7E3
	v_add3_u32 v45, v227, v48, 1                               // 00000000C84C: D1FF002D 020661E3
	v_cndmask_b32_e64 v53, v45, v47, s[48:49]                  // 00000000C854: D1000035 00C25F2D
	v_perm_b32 v221, v53, v52, s52                             // 00000000C85C: D1ED00DD 00D26935
	v_cmp_u_f32_e64 s[48:49], v228, v228                       // 00000000C864: D0480030 0003C9E4
	v_add3_u32 v45, v228, v48, 1                               // 00000000C86C: D1FF002D 020661E4
	v_cndmask_b32_e64 v52, v45, v47, s[48:49]                  // 00000000C874: D1000034 00C25F2D
	v_cmp_u_f32_e64 s[48:49], v229, v229                       // 00000000C87C: D0480030 0003CBE5
	v_add3_u32 v45, v229, v48, 1                               // 00000000C884: D1FF002D 020661E5
	v_cndmask_b32_e64 v53, v45, v47, s[48:49]                  // 00000000C88C: D1000035 00C25F2D
	v_perm_b32 v222, v53, v52, s52                             // 00000000C894: D1ED00DE 00D26935
	v_cmp_u_f32_e64 s[48:49], v230, v230                       // 00000000C89C: D0480030 0003CDE6
	v_add3_u32 v45, v230, v48, 1                               // 00000000C8A4: D1FF002D 020661E6
	v_cndmask_b32_e64 v52, v45, v47, s[48:49]                  // 00000000C8AC: D1000034 00C25F2D
	v_cmp_u_f32_e64 s[48:49], v231, v231                       // 00000000C8B4: D0480030 0003CFE7
	v_add3_u32 v45, v231, v48, 1                               // 00000000C8BC: D1FF002D 020661E7
	v_cndmask_b32_e64 v53, v45, v47, s[48:49]                  // 00000000C8C4: D1000035 00C25F2D
	v_perm_b32 v223, v53, v52, s52                             // 00000000C8CC: D1ED00DF 00D26935
	v_cmp_u_f32_e64 s[48:49], v232, v232                       // 00000000C8D4: D0480030 0003D1E8
	v_add3_u32 v45, v232, v48, 1                               // 00000000C8DC: D1FF002D 020661E8
	v_cndmask_b32_e64 v52, v45, v47, s[48:49]                  // 00000000C8E4: D1000034 00C25F2D
	v_cmp_u_f32_e64 s[48:49], v233, v233                       // 00000000C8EC: D0480030 0003D3E9
	v_add3_u32 v45, v233, v48, 1                               // 00000000C8F4: D1FF002D 020661E9
	v_cndmask_b32_e64 v53, v45, v47, s[48:49]                  // 00000000C8FC: D1000035 00C25F2D
	v_perm_b32 v224, v53, v52, s52                             // 00000000C904: D1ED00E0 00D26935
	v_cmp_u_f32_e64 s[48:49], v234, v234                       // 00000000C90C: D0480030 0003D5EA
	v_add3_u32 v45, v234, v48, 1                               // 00000000C914: D1FF002D 020661EA
	v_cndmask_b32_e64 v52, v45, v47, s[48:49]                  // 00000000C91C: D1000034 00C25F2D
	v_cmp_u_f32_e64 s[48:49], v235, v235                       // 00000000C924: D0480030 0003D7EB
	v_add3_u32 v45, v235, v48, 1                               // 00000000C92C: D1FF002D 020661EB
	v_cndmask_b32_e64 v53, v45, v47, s[48:49]                  // 00000000C934: D1000035 00C25F2D
	v_perm_b32 v225, v53, v52, s52                             // 00000000C93C: D1ED00E1 00D26935
	v_cmp_u_f32_e64 s[48:49], v236, v236                       // 00000000C944: D0480030 0003D9EC
	v_add3_u32 v45, v236, v48, 1                               // 00000000C94C: D1FF002D 020661EC
	v_cndmask_b32_e64 v52, v45, v47, s[48:49]                  // 00000000C954: D1000034 00C25F2D
	v_cmp_u_f32_e64 s[48:49], v237, v237                       // 00000000C95C: D0480030 0003DBED
	v_add3_u32 v45, v237, v48, 1                               // 00000000C964: D1FF002D 020661ED
	v_cndmask_b32_e64 v53, v45, v47, s[48:49]                  // 00000000C96C: D1000035 00C25F2D
	v_perm_b32 v226, v53, v52, s52                             // 00000000C974: D1ED00E2 00D26935
	v_cmp_u_f32_e64 s[48:49], v238, v238                       // 00000000C97C: D0480030 0003DDEE
	v_add3_u32 v45, v238, v48, 1                               // 00000000C984: D1FF002D 020661EE
	v_cndmask_b32_e64 v52, v45, v47, s[48:49]                  // 00000000C98C: D1000034 00C25F2D
	v_cmp_u_f32_e64 s[48:49], v239, v239                       // 00000000C994: D0480030 0003DFEF
	v_add3_u32 v45, v239, v48, 1                               // 00000000C99C: D1FF002D 020661EF
	v_cndmask_b32_e64 v53, v45, v47, s[48:49]                  // 00000000C9A4: D1000035 00C25F2D
	v_perm_b32 v227, v53, v52, s52                             // 00000000C9AC: D1ED00E3 00D26935
	v_cmp_u_f32_e64 s[48:49], v240, v240                       // 00000000C9B4: D0480030 0003E1F0
	v_add3_u32 v45, v240, v48, 1                               // 00000000C9BC: D1FF002D 020661F0
	v_cndmask_b32_e64 v52, v45, v47, s[48:49]                  // 00000000C9C4: D1000034 00C25F2D
	v_cmp_u_f32_e64 s[48:49], v241, v241                       // 00000000C9CC: D0480030 0003E3F1
	v_add3_u32 v45, v241, v48, 1                               // 00000000C9D4: D1FF002D 020661F1
	v_cndmask_b32_e64 v53, v45, v47, s[48:49]                  // 00000000C9DC: D1000035 00C25F2D
	v_perm_b32 v228, v53, v52, s52                             // 00000000C9E4: D1ED00E4 00D26935
	v_cmp_u_f32_e64 s[48:49], v242, v242                       // 00000000C9EC: D0480030 0003E5F2
	v_add3_u32 v45, v242, v48, 1                               // 00000000C9F4: D1FF002D 020661F2
	v_cndmask_b32_e64 v52, v45, v47, s[48:49]                  // 00000000C9FC: D1000034 00C25F2D
	v_cmp_u_f32_e64 s[48:49], v243, v243                       // 00000000CA04: D0480030 0003E7F3
	v_add3_u32 v45, v243, v48, 1                               // 00000000CA0C: D1FF002D 020661F3
	v_cndmask_b32_e64 v53, v45, v47, s[48:49]                  // 00000000CA14: D1000035 00C25F2D
	v_perm_b32 v229, v53, v52, s52                             // 00000000CA1C: D1ED00E5 00D26935
	v_cmp_u_f32_e64 s[48:49], v244, v244                       // 00000000CA24: D0480030 0003E9F4
	v_add3_u32 v45, v244, v48, 1                               // 00000000CA2C: D1FF002D 020661F4
	v_cndmask_b32_e64 v52, v45, v47, s[48:49]                  // 00000000CA34: D1000034 00C25F2D
	v_cmp_u_f32_e64 s[48:49], v245, v245                       // 00000000CA3C: D0480030 0003EBF5
	v_add3_u32 v45, v245, v48, 1                               // 00000000CA44: D1FF002D 020661F5
	v_cndmask_b32_e64 v53, v45, v47, s[48:49]                  // 00000000CA4C: D1000035 00C25F2D
	v_perm_b32 v230, v53, v52, s52                             // 00000000CA54: D1ED00E6 00D26935
	v_cmp_u_f32_e64 s[48:49], v246, v246                       // 00000000CA5C: D0480030 0003EDF6
	v_add3_u32 v45, v246, v48, 1                               // 00000000CA64: D1FF002D 020661F6
	v_cndmask_b32_e64 v52, v45, v47, s[48:49]                  // 00000000CA6C: D1000034 00C25F2D
	v_cmp_u_f32_e64 s[48:49], v247, v247                       // 00000000CA74: D0480030 0003EFF7
	v_add3_u32 v45, v247, v48, 1                               // 00000000CA7C: D1FF002D 020661F7
	v_cndmask_b32_e64 v53, v45, v47, s[48:49]                  // 00000000CA84: D1000035 00C25F2D
	v_perm_b32 v231, v53, v52, s52                             // 00000000CA8C: D1ED00E7 00D26935
	ds_write_b64 v3, v[216:217] offset:33024                   // 00000000CA94: D89A8100 0000D803
	ds_write_b64 v3, v[218:219] offset:41728                   // 00000000CA9C: D89AA300 0000DA03
	ds_write_b64 v3, v[220:221] offset:35200                   // 00000000CAA4: D89A8980 0000DC03
	ds_write_b64 v3, v[222:223] offset:43904                   // 00000000CAAC: D89AAB80 0000DE03
	ds_write_b64 v3, v[224:225] offset:37376                   // 00000000CAB4: D89A9200 0000E003
	ds_write_b64 v3, v[226:227] offset:46080                   // 00000000CABC: D89AB400 0000E203
	ds_write_b64 v3, v[228:229] offset:39552                   // 00000000CAC4: D89A9A80 0000E403
	ds_write_b64 v3, v[230:231] offset:48256                   // 00000000CACC: D89ABC80 0000E603
	s_waitcnt lgkmcnt(0)                                       // 00000000CAD4: BF8CC07F
	s_barrier                                                  // 00000000CAD8: BF8A0000
	ds_read_b32 v64, v4 offset:33024                           // 00000000CADC: D86C8100 40000004
	ds_read_b32 v65, v4 offset:37376                           // 00000000CAE4: D86C9200 41000004
	ds_read_b32 v66, v4 offset:33056                           // 00000000CAEC: D86C8120 42000004
	ds_read_b32 v67, v4 offset:37408                           // 00000000CAF4: D86C9220 43000004
	ds_read_b32 v68, v4 offset:33088                           // 00000000CAFC: D86C8140 44000004
	ds_read_b32 v69, v4 offset:37440                           // 00000000CB04: D86C9240 45000004
	ds_read_b32 v70, v4 offset:33120                           // 00000000CB0C: D86C8160 46000004
	ds_read_b32 v71, v4 offset:37472                           // 00000000CB14: D86C9260 47000004
	ds_read_b32 v72, v4 offset:41728                           // 00000000CB1C: D86CA300 48000004
	ds_read_b32 v73, v4 offset:46080                           // 00000000CB24: D86CB400 49000004
	ds_read_b32 v74, v4 offset:41760                           // 00000000CB2C: D86CA320 4A000004
	ds_read_b32 v75, v4 offset:46112                           // 00000000CB34: D86CB420 4B000004
	ds_read_b32 v76, v4 offset:41792                           // 00000000CB3C: D86CA340 4C000004
	ds_read_b32 v77, v4 offset:46144                           // 00000000CB44: D86CB440 4D000004
	ds_read_b32 v78, v4 offset:41824                           // 00000000CB4C: D86CA360 4E000004
	ds_read_b32 v79, v4 offset:46176                           // 00000000CB54: D86CB460 4F000004
	s_waitcnt lgkmcnt(0)                                       // 00000000CB5C: BF8CC07F
	s_mov_b64 exec, s[20:21]                                   // 00000000CB60: BEFE0114
	global_atomic_pk_add_bf16 v80, v64, s[8:9]                 // 00000000CB64: DD488000 00084050
	s_mov_b64 exec, s[36:37]                                   // 00000000CB6C: BEFE0124
	s_mov_b64 exec, s[20:21]                                   // 00000000CB70: BEFE0114
	global_atomic_pk_add_bf16 v80, v65, s[8:9] offset:256      // 00000000CB74: DD488100 00084150
	s_mov_b64 exec, s[36:37]                                   // 00000000CB7C: BEFE0124
	s_mov_b64 exec, s[22:23]                                   // 00000000CB80: BEFE0116
	global_atomic_pk_add_bf16 v82, v66, s[8:9]                 // 00000000CB84: DD488000 00084252
	s_mov_b64 exec, s[36:37]                                   // 00000000CB8C: BEFE0124
	s_mov_b64 exec, s[22:23]                                   // 00000000CB90: BEFE0116
	global_atomic_pk_add_bf16 v82, v67, s[8:9] offset:256      // 00000000CB94: DD488100 00084352
	s_mov_b64 exec, s[36:37]                                   // 00000000CB9C: BEFE0124
	s_mov_b64 exec, s[24:25]                                   // 00000000CBA0: BEFE0118
	global_atomic_pk_add_bf16 v84, v68, s[8:9]                 // 00000000CBA4: DD488000 00084454
	s_mov_b64 exec, s[36:37]                                   // 00000000CBAC: BEFE0124
	s_mov_b64 exec, s[24:25]                                   // 00000000CBB0: BEFE0118
	global_atomic_pk_add_bf16 v84, v69, s[8:9] offset:256      // 00000000CBB4: DD488100 00084554
	s_mov_b64 exec, s[36:37]                                   // 00000000CBBC: BEFE0124
	s_mov_b64 exec, s[26:27]                                   // 00000000CBC0: BEFE011A
	global_atomic_pk_add_bf16 v86, v70, s[8:9]                 // 00000000CBC4: DD488000 00084656
	s_mov_b64 exec, s[36:37]                                   // 00000000CBCC: BEFE0124
	s_mov_b64 exec, s[26:27]                                   // 00000000CBD0: BEFE011A
	global_atomic_pk_add_bf16 v86, v71, s[8:9] offset:256      // 00000000CBD4: DD488100 00084756
	s_mov_b64 exec, s[36:37]                                   // 00000000CBDC: BEFE0124
	s_mov_b64 exec, s[28:29]                                   // 00000000CBE0: BEFE011C
	global_atomic_pk_add_bf16 v88, v72, s[8:9]                 // 00000000CBE4: DD488000 00084858
	s_mov_b64 exec, s[36:37]                                   // 00000000CBEC: BEFE0124
	s_mov_b64 exec, s[28:29]                                   // 00000000CBF0: BEFE011C
	global_atomic_pk_add_bf16 v88, v73, s[8:9] offset:256      // 00000000CBF4: DD488100 00084958
	s_mov_b64 exec, s[36:37]                                   // 00000000CBFC: BEFE0124
	s_mov_b64 exec, s[30:31]                                   // 00000000CC00: BEFE011E
	global_atomic_pk_add_bf16 v90, v74, s[8:9]                 // 00000000CC04: DD488000 00084A5A
	s_mov_b64 exec, s[36:37]                                   // 00000000CC0C: BEFE0124
	s_mov_b64 exec, s[30:31]                                   // 00000000CC10: BEFE011E
	global_atomic_pk_add_bf16 v90, v75, s[8:9] offset:256      // 00000000CC14: DD488100 00084B5A
	s_mov_b64 exec, s[36:37]                                   // 00000000CC1C: BEFE0124
	s_mov_b64 exec, s[32:33]                                   // 00000000CC20: BEFE0120
	global_atomic_pk_add_bf16 v92, v76, s[8:9]                 // 00000000CC24: DD488000 00084C5C
	s_mov_b64 exec, s[36:37]                                   // 00000000CC2C: BEFE0124
	s_mov_b64 exec, s[32:33]                                   // 00000000CC30: BEFE0120
	global_atomic_pk_add_bf16 v92, v77, s[8:9] offset:256      // 00000000CC34: DD488100 00084D5C
	s_mov_b64 exec, s[36:37]                                   // 00000000CC3C: BEFE0124
	s_mov_b64 exec, s[34:35]                                   // 00000000CC40: BEFE0122
	global_atomic_pk_add_bf16 v94, v78, s[8:9]                 // 00000000CC44: DD488000 00084E5E
	s_mov_b64 exec, s[36:37]                                   // 00000000CC4C: BEFE0124
	s_mov_b64 exec, s[34:35]                                   // 00000000CC50: BEFE0122
	global_atomic_pk_add_bf16 v94, v79, s[8:9] offset:256      // 00000000CC54: DD488100 00084F5E
	s_mov_b64 exec, s[36:37]                                   // 00000000CC5C: BEFE0124
	s_add_u32 s8, s59, s8                                      // 00000000CC60: 8008083B
	s_addc_u32 s9, 0, s9                                       // 00000000CC64: 82090980
	s_addk_i32 s80, 0x100                                      // 00000000CC68: B7500100
	s_cmp_lt_i32 s80, s81                                      // 00000000CC6C: BF045150
	s_cbranch_scc0 label_152A                                  // 00000000CC70: BF84ED8D
	s_branch label_213D                                        // 00000000CC74: BF82F99F

000000000000cc78 <label_279E>:
	s_waitcnt vmcnt(0) expcnt(0) lgkmcnt(0)                    // 00000000CC78: BF8C0000
	s_endpgm                                                   // 00000000CC7C: BF810000
